;; amdgpu-corpus repo=ROCm/rocFFT kind=compiled arch=gfx950 opt=O3
	.text
	.amdgcn_target "amdgcn-amd-amdhsa--gfx950"
	.amdhsa_code_object_version 6
	.protected	bluestein_single_fwd_len1210_dim1_dp_op_CI_CI ; -- Begin function bluestein_single_fwd_len1210_dim1_dp_op_CI_CI
	.globl	bluestein_single_fwd_len1210_dim1_dp_op_CI_CI
	.p2align	8
	.type	bluestein_single_fwd_len1210_dim1_dp_op_CI_CI,@function
bluestein_single_fwd_len1210_dim1_dp_op_CI_CI: ; @bluestein_single_fwd_len1210_dim1_dp_op_CI_CI
; %bb.0:
	s_load_dwordx4 s[8:11], s[0:1], 0x28
	v_mul_u32_u24_e32 v1, 0x254, v0
	v_mov_b32_e32 v201, 0
	v_add_u32_sdwa v202, s2, v1 dst_sel:DWORD dst_unused:UNUSED_PAD src0_sel:DWORD src1_sel:WORD_1
	v_mov_b32_e32 v203, v201
	s_waitcnt lgkmcnt(0)
	v_cmp_gt_u64_e32 vcc, s[8:9], v[202:203]
	s_and_saveexec_b64 s[2:3], vcc
	s_cbranch_execz .LBB0_23
; %bb.1:
	s_load_dwordx4 s[4:7], s[0:1], 0x18
	s_load_dwordx2 s[14:15], s[0:1], 0x0
	v_mov_b32_e32 v2, s10
	v_mov_b32_e32 v3, s11
	s_movk_i32 s2, 0x6e
	s_waitcnt lgkmcnt(0)
	s_load_dwordx4 s[8:11], s[4:5], 0x0
	v_mul_lo_u16_sdwa v1, v1, s2 dst_sel:DWORD dst_unused:UNUSED_PAD src0_sel:WORD_1 src1_sel:DWORD
	v_sub_u16_e32 v200, v0, v1
	v_lshlrev_b32_e32 v196, 4, v200
	v_mov_b32_e32 v197, v201
	s_waitcnt lgkmcnt(0)
	v_mad_u64_u32 v[0:1], s[2:3], s10, v202, 0
	v_mov_b32_e32 v4, v1
	v_mad_u64_u32 v[4:5], s[2:3], s11, v202, v[4:5]
	v_mov_b32_e32 v1, v4
	v_mad_u64_u32 v[4:5], s[2:3], s8, v200, 0
	v_mov_b32_e32 v6, v5
	v_mad_u64_u32 v[6:7], s[2:3], s9, v200, v[6:7]
	v_lshl_add_u64 v[198:199], s[14:15], 0, v[196:197]
	s_movk_i32 s10, 0x2000
	s_mul_i32 s2, s9, 0x25d
	s_mul_hi_u32 s3, s8, 0x25d
	v_add_co_u32_e32 v12, vcc, s10, v198
	s_mul_hi_u32 s10, s8, 0xfffffe11
	v_mov_b32_e32 v5, v6
	v_lshl_add_u64 v[0:1], v[0:1], 4, v[2:3]
	s_add_i32 s3, s3, s2
	s_mul_i32 s2, s8, 0x25d
	s_mulk_i32 s9, 0xfe11
	s_sub_i32 s10, s10, s8
	v_lshl_add_u64 v[0:1], v[4:5], 4, v[0:1]
	global_load_dwordx4 v[24:27], v196, s[14:15]
	s_lshl_b64 s[4:5], s[2:3], 4
	v_addc_co_u32_e32 v13, vcc, 0, v199, vcc
	s_add_i32 s17, s10, s9
	s_mul_i32 s16, s8, 0xfffffe11
	v_lshl_add_u64 v[4:5], v[0:1], 0, s[4:5]
	global_load_dwordx4 v[44:47], v[0:1], off
	global_load_dwordx4 v[40:43], v[4:5], off
	s_lshl_b64 s[8:9], s[16:17], 4
	global_load_dwordx4 v[0:3], v[12:13], off offset:1488
	v_lshl_add_u64 v[14:15], v[4:5], 0, s[8:9]
	global_load_dwordx4 v[4:7], v196, s[14:15] offset:1760
	v_lshl_add_u64 v[16:17], v[14:15], 0, s[4:5]
	global_load_dwordx4 v[52:55], v[14:15], off
	global_load_dwordx4 v[56:59], v[16:17], off
	global_load_dwordx4 v[8:11], v[12:13], off offset:3248
	v_lshl_add_u64 v[16:17], v[16:17], 0, s[8:9]
	s_movk_i32 s10, 0x3000
	global_load_dwordx4 v[60:63], v[16:17], off
	global_load_dwordx4 v[12:15], v196, s[14:15] offset:3520
	v_add_co_u32_e32 v32, vcc, s10, v198
	v_lshl_add_u64 v[20:21], v[16:17], 0, s[4:5]
	s_nop 0
	v_addc_co_u32_e32 v33, vcc, 0, v199, vcc
	s_movk_i32 s10, 0x1000
	global_load_dwordx4 v[64:67], v[20:21], off
	global_load_dwordx4 v[16:19], v[32:33], off offset:912
	v_add_co_u32_e32 v36, vcc, s10, v198
	v_lshl_add_u64 v[20:21], v[20:21], 0, s[8:9]
	s_nop 0
	v_addc_co_u32_e32 v37, vcc, 0, v199, vcc
	global_load_dwordx4 v[28:31], v[36:37], off offset:1184
	global_load_dwordx4 v[68:71], v[20:21], off
	v_lshl_add_u64 v[34:35], v[20:21], 0, s[4:5]
	global_load_dwordx4 v[72:75], v[34:35], off
	global_load_dwordx4 v[20:23], v[32:33], off offset:2672
	v_lshl_add_u64 v[38:39], v[34:35], 0, s[8:9]
	v_lshl_add_u64 v[50:51], v[38:39], 0, s[4:5]
	s_movk_i32 s4, 0x4000
	global_load_dwordx4 v[76:79], v[38:39], off
	global_load_dwordx4 v[32:35], v[36:37], off offset:2944
	v_add_co_u32_e32 v48, vcc, s4, v198
	v_cmp_gt_u16_e64 s[4:5], 55, v200
	s_nop 0
	v_addc_co_u32_e32 v49, vcc, 0, v199, vcc
	global_load_dwordx4 v[36:39], v[48:49], off offset:336
	global_load_dwordx4 v[80:83], v[50:51], off
	s_load_dwordx2 s[12:13], s[0:1], 0x38
	s_load_dwordx4 s[8:11], s[6:7], 0x0
	s_waitcnt vmcnt(18)
	v_mul_f64 v[84:85], v[46:47], v[26:27]
	v_mul_f64 v[86:87], v[44:45], v[26:27]
	v_fmac_f64_e32 v[84:85], v[44:45], v[24:25]
	v_fma_f64 v[86:87], v[46:47], v[24:25], -v[86:87]
	s_waitcnt vmcnt(16)
	v_mul_f64 v[44:45], v[42:43], v[2:3]
	v_mul_f64 v[46:47], v[40:41], v[2:3]
	v_fmac_f64_e32 v[44:45], v[40:41], v[0:1]
	v_fma_f64 v[46:47], v[42:43], v[0:1], -v[46:47]
	;; [unrolled: 5-line block ×3, first 2 shown]
	ds_write_b128 v196, v[40:43] offset:1760
	s_waitcnt vmcnt(12)
	v_mul_f64 v[40:41], v[58:59], v[10:11]
	v_mul_f64 v[42:43], v[56:57], v[10:11]
	v_fmac_f64_e32 v[40:41], v[56:57], v[8:9]
	v_fma_f64 v[42:43], v[58:59], v[8:9], -v[42:43]
	ds_write_b128 v196, v[40:43] offset:11440
	s_waitcnt vmcnt(10)
	v_mul_f64 v[40:41], v[62:63], v[14:15]
	v_mul_f64 v[42:43], v[60:61], v[14:15]
	v_fmac_f64_e32 v[40:41], v[60:61], v[12:13]
	v_fma_f64 v[42:43], v[62:63], v[12:13], -v[42:43]
	;; [unrolled: 6-line block ×7, first 2 shown]
	ds_write_b128 v196, v[84:87]
	ds_write_b128 v196, v[44:47] offset:9680
	ds_write_b128 v196, v[40:43] offset:16720
	s_and_saveexec_b64 s[6:7], s[4:5]
	s_cbranch_execz .LBB0_3
; %bb.2:
	v_add_co_u32_e32 v44, vcc, 0x2000, v198
	v_lshl_add_u64 v[50:51], s[16:17], 4, v[50:51]
	s_nop 0
	v_addc_co_u32_e32 v45, vcc, 0, v199, vcc
	global_load_dwordx4 v[40:43], v[50:51], off
	v_lshl_add_u64 v[58:59], s[2:3], 4, v[50:51]
	global_load_dwordx4 v[44:47], v[44:45], off offset:608
	s_nop 0
	global_load_dwordx4 v[50:53], v[48:49], off offset:2096
	global_load_dwordx4 v[54:57], v[58:59], off
	s_waitcnt vmcnt(2)
	v_mul_f64 v[58:59], v[42:43], v[46:47]
	v_mul_f64 v[48:49], v[40:41], v[46:47]
	s_waitcnt vmcnt(0)
	v_mul_f64 v[46:47], v[56:57], v[52:53]
	v_mul_f64 v[52:53], v[54:55], v[52:53]
	v_fmac_f64_e32 v[58:59], v[40:41], v[44:45]
	v_fma_f64 v[60:61], v[42:43], v[44:45], -v[48:49]
	v_fmac_f64_e32 v[46:47], v[54:55], v[50:51]
	v_fma_f64 v[48:49], v[56:57], v[50:51], -v[52:53]
	ds_write_b128 v196, v[58:61] offset:8800
	ds_write_b128 v196, v[46:49] offset:18480
.LBB0_3:
	s_or_b64 exec, exec, s[6:7]
	s_waitcnt lgkmcnt(0)
	s_barrier
	ds_read_b128 v[80:83], v196
	ds_read_b128 v[72:75], v196 offset:1760
	ds_read_b128 v[76:79], v196 offset:11440
	;; [unrolled: 1-line block ×9, first 2 shown]
                                        ; implicit-def: $vgpr40_vgpr41
                                        ; implicit-def: $vgpr56_vgpr57
	s_and_saveexec_b64 s[2:3], s[4:5]
	s_cbranch_execz .LBB0_5
; %bb.4:
	ds_read_b128 v[40:43], v196 offset:8800
	ds_read_b128 v[56:59], v196 offset:18480
.LBB0_5:
	s_or_b64 exec, exec, s[2:3]
	s_load_dwordx2 s[0:1], s[0:1], 0x8
	s_mov_b64 s[2:3], 0x6e
	v_lshl_add_u64 v[118:119], v[200:201], 0, s[2:3]
	s_mov_b64 s[2:3], 0xdc
	v_lshl_add_u64 v[116:117], v[200:201], 0, s[2:3]
	s_mov_b64 s[2:3], 0x226
	s_waitcnt lgkmcnt(0)
	v_add_f64 v[56:57], v[40:41], -v[56:57]
	v_lshl_add_u64 v[92:93], v[200:201], 0, s[2:3]
	v_add_f64 v[84:85], v[80:81], -v[84:85]
	v_add_f64 v[86:87], v[82:83], -v[86:87]
	;; [unrolled: 1-line block ×7, first 2 shown]
	v_fma_f64 v[68:69], v[40:41], 2.0, -v[56:57]
	v_lshlrev_b16_e32 v40, 1, v200
	v_lshlrev_b32_e32 v206, 5, v200
	v_fma_f64 v[80:81], v[80:81], 2.0, -v[84:85]
	v_fma_f64 v[82:83], v[82:83], 2.0, -v[86:87]
	v_fma_f64 v[72:73], v[72:73], 2.0, -v[76:77]
	v_fma_f64 v[74:75], v[74:75], 2.0, -v[78:79]
	v_fma_f64 v[64:65], v[64:65], 2.0, -v[88:89]
	v_fma_f64 v[66:67], v[66:67], 2.0, -v[90:91]
	v_add_f64 v[60:61], v[52:53], -v[60:61]
	v_add_f64 v[62:63], v[54:55], -v[62:63]
	;; [unrolled: 1-line block ×4, first 2 shown]
	v_fma_f64 v[70:71], v[42:43], 2.0, -v[58:59]
	v_lshlrev_b32_e32 v203, 4, v40
	v_lshlrev_b32_e32 v204, 5, v118
	;; [unrolled: 1-line block ×4, first 2 shown]
	v_fma_f64 v[52:53], v[52:53], 2.0, -v[60:61]
	v_fma_f64 v[54:55], v[54:55], 2.0, -v[62:63]
	;; [unrolled: 1-line block ×4, first 2 shown]
	s_barrier
	ds_write_b128 v203, v[80:83]
	ds_write_b128 v203, v[84:87] offset:16
	ds_write_b128 v204, v[72:75]
	ds_write_b128 v204, v[76:79] offset:16
	;; [unrolled: 2-line block ×3, first 2 shown]
	ds_write_b128 v206, v[52:55] offset:10560
	ds_write_b128 v206, v[60:63] offset:10576
	;; [unrolled: 1-line block ×4, first 2 shown]
	s_and_saveexec_b64 s[2:3], s[4:5]
	s_cbranch_execz .LBB0_7
; %bb.6:
	ds_write_b128 v201, v[68:71]
	ds_write_b128 v201, v[56:59] offset:16
.LBB0_7:
	s_or_b64 exec, exec, s[2:3]
	s_waitcnt lgkmcnt(0)
	s_barrier
	ds_read_b128 v[76:79], v196
	ds_read_b128 v[72:75], v196 offset:1760
	ds_read_b128 v[88:91], v196 offset:3872
	;; [unrolled: 1-line block ×9, first 2 shown]
	v_cmp_gt_u16_e64 s[2:3], 22, v200
                                        ; implicit-def: $vgpr104_vgpr105
                                        ; implicit-def: $vgpr108_vgpr109
                                        ; implicit-def: $vgpr112_vgpr113
	s_and_saveexec_b64 s[6:7], s[2:3]
	s_cbranch_execz .LBB0_9
; %bb.8:
	ds_read_b128 v[68:71], v196 offset:3520
	ds_read_b128 v[56:59], v196 offset:7392
	;; [unrolled: 1-line block ×5, first 2 shown]
.LBB0_9:
	s_or_b64 exec, exec, s[6:7]
	v_and_b32_e32 v197, 1, v200
	v_lshlrev_b32_e32 v40, 6, v197
	global_load_dwordx4 v[44:47], v40, s[0:1]
	global_load_dwordx4 v[52:55], v40, s[0:1] offset:16
	global_load_dwordx4 v[48:51], v40, s[0:1] offset:32
	s_nop 0
	global_load_dwordx4 v[40:43], v40, s[0:1] offset:48
	s_mov_b32 s16, 0x134454ff
	s_mov_b32 s17, 0x3fee6f0e
	;; [unrolled: 1-line block ×10, first 2 shown]
	v_lshrrev_b32_e32 v117, 1, v200
	v_mul_u32_u24_e32 v117, 10, v117
	v_or_b32_e32 v117, v117, v197
	v_lshlrev_b32_e32 v208, 4, v117
	s_waitcnt lgkmcnt(0)
	s_barrier
	v_mov_b32_e32 v153, 0
	v_lshrrev_b32_e32 v207, 1, v116
	s_waitcnt vmcnt(3)
	v_mul_f64 v[136:137], v[90:91], v[46:47]
	s_waitcnt vmcnt(2)
	v_mul_f64 v[140:141], v[94:95], v[54:55]
	v_mul_f64 v[162:163], v[58:59], v[46:47]
	v_fma_f64 v[136:137], v[88:89], v[44:45], -v[136:137]
	v_mul_f64 v[138:139], v[88:89], v[46:47]
	v_mul_f64 v[142:143], v[92:93], v[54:55]
	s_waitcnt vmcnt(1)
	v_mul_f64 v[144:145], v[98:99], v[50:51]
	s_waitcnt vmcnt(0)
	v_mul_f64 v[148:149], v[102:103], v[42:43]
	v_mul_f64 v[120:121], v[56:57], v[46:47]
	v_fma_f64 v[140:141], v[92:93], v[52:53], -v[140:141]
	v_fma_f64 v[92:93], v[56:57], v[44:45], -v[162:163]
	v_add_f64 v[56:57], v[76:77], v[136:137]
	v_mul_f64 v[146:147], v[96:97], v[50:51]
	v_fmac_f64_e32 v[138:139], v[90:91], v[44:45]
	v_fma_f64 v[144:145], v[96:97], v[48:49], -v[144:145]
	v_fma_f64 v[90:91], v[100:101], v[40:41], -v[148:149]
	v_add_f64 v[56:57], v[56:57], v[140:141]
	v_mul_f64 v[150:151], v[100:101], v[42:43]
	v_mul_f64 v[128:129], v[60:61], v[46:47]
	;; [unrolled: 1-line block ×7, first 2 shown]
	v_fmac_f64_e32 v[142:143], v[94:95], v[52:53]
	v_fmac_f64_e32 v[146:147], v[98:99], v[48:49]
	v_fmac_f64_e32 v[120:121], v[58:59], v[44:45]
	v_add_f64 v[58:59], v[140:141], v[144:145]
	v_add_f64 v[100:101], v[136:137], v[90:91]
	;; [unrolled: 1-line block ×3, first 2 shown]
	v_mul_f64 v[154:155], v[62:63], v[46:47]
	v_mul_f64 v[132:133], v[80:81], v[50:51]
	;; [unrolled: 1-line block ×3, first 2 shown]
	v_fmac_f64_e32 v[150:151], v[102:103], v[40:41]
	v_fmac_f64_e32 v[128:129], v[62:63], v[44:45]
	v_fma_f64 v[62:63], v[64:65], v[52:53], -v[156:157]
	v_fmac_f64_e32 v[130:131], v[66:67], v[52:53]
	v_fma_f64 v[64:65], v[80:81], v[48:49], -v[158:159]
	v_fma_f64 v[66:67], v[84:85], v[40:41], -v[160:161]
	v_fmac_f64_e32 v[134:135], v[86:87], v[40:41]
	v_add_f64 v[86:87], v[142:143], -v[146:147]
	v_add_f64 v[84:85], v[136:137], -v[140:141]
	;; [unrolled: 1-line block ×3, first 2 shown]
	v_fma_f64 v[80:81], -0.5, v[58:59], v[76:77]
	v_fmac_f64_e32 v[76:77], -0.5, v[100:101]
	v_add_f64 v[100:101], v[56:57], v[90:91]
	v_add_f64 v[56:57], v[78:79], v[138:139]
	v_mul_f64 v[122:123], v[104:105], v[54:55]
	v_fmac_f64_e32 v[132:133], v[82:83], v[48:49]
	v_fma_f64 v[94:95], v[104:105], v[52:53], -v[164:165]
	v_add_f64 v[82:83], v[138:139], -v[150:151]
	v_add_f64 v[102:103], v[140:141], -v[136:137]
	;; [unrolled: 1-line block ×3, first 2 shown]
	v_add_f64 v[58:59], v[84:85], v[88:89]
	v_fma_f64 v[84:85], s[20:21], v[86:87], v[76:77]
	v_fmac_f64_e32 v[76:77], s[16:17], v[86:87]
	v_add_f64 v[56:57], v[56:57], v[142:143]
	v_add_f64 v[102:103], v[102:103], v[104:105]
	v_fmac_f64_e32 v[84:85], s[6:7], v[82:83]
	v_fmac_f64_e32 v[76:77], s[22:23], v[82:83]
	v_add_f64 v[56:57], v[56:57], v[146:147]
	v_fma_f64 v[88:89], s[16:17], v[82:83], v[80:81]
	v_fmac_f64_e32 v[80:81], s[20:21], v[82:83]
	v_fmac_f64_e32 v[84:85], s[18:19], v[102:103]
	;; [unrolled: 1-line block ×3, first 2 shown]
	v_add_f64 v[102:103], v[56:57], v[150:151]
	v_add_f64 v[56:57], v[142:143], v[146:147]
	v_fmac_f64_e32 v[88:89], s[6:7], v[86:87]
	v_fmac_f64_e32 v[80:81], s[22:23], v[86:87]
	v_fma_f64 v[82:83], -0.5, v[56:57], v[78:79]
	v_add_f64 v[56:57], v[136:137], -v[90:91]
	v_fmac_f64_e32 v[88:89], s[18:19], v[58:59]
	v_fmac_f64_e32 v[80:81], s[18:19], v[58:59]
	v_fma_f64 v[90:91], s[20:21], v[56:57], v[82:83]
	v_add_f64 v[58:59], v[140:141], -v[144:145]
	v_add_f64 v[86:87], v[138:139], -v[142:143]
	v_add_f64 v[104:105], v[150:151], -v[146:147]
	v_fmac_f64_e32 v[82:83], s[16:17], v[56:57]
	v_fmac_f64_e32 v[90:91], s[22:23], v[58:59]
	v_add_f64 v[86:87], v[86:87], v[104:105]
	v_fmac_f64_e32 v[82:83], s[6:7], v[58:59]
	v_fmac_f64_e32 v[90:91], s[18:19], v[86:87]
	;; [unrolled: 1-line block ×3, first 2 shown]
	v_add_f64 v[86:87], v[138:139], v[150:151]
	v_fmac_f64_e32 v[78:79], -0.5, v[86:87]
	v_fma_f64 v[60:61], v[60:61], v[44:45], -v[154:155]
	v_fma_f64 v[86:87], s[16:17], v[58:59], v[78:79]
	v_fmac_f64_e32 v[78:79], s[20:21], v[58:59]
	v_fmac_f64_e32 v[86:87], s[22:23], v[56:57]
	;; [unrolled: 1-line block ×3, first 2 shown]
	v_add_f64 v[56:57], v[72:73], v[60:61]
	v_fmac_f64_e32 v[122:123], v[106:107], v[52:53]
	v_add_f64 v[104:105], v[142:143], -v[138:139]
	v_add_f64 v[106:107], v[146:147], -v[150:151]
	v_add_f64 v[56:57], v[56:57], v[62:63]
	v_add_f64 v[104:105], v[104:105], v[106:107]
	;; [unrolled: 1-line block ×3, first 2 shown]
	v_mul_f64 v[166:167], v[110:111], v[50:51]
	v_fmac_f64_e32 v[86:87], s[18:19], v[104:105]
	v_fmac_f64_e32 v[78:79], s[18:19], v[104:105]
	v_add_f64 v[104:105], v[56:57], v[66:67]
	v_add_f64 v[56:57], v[62:63], v[64:65]
	v_mul_f64 v[124:125], v[108:109], v[50:51]
	v_mul_f64 v[168:169], v[114:115], v[42:43]
	v_fma_f64 v[96:97], v[108:109], v[48:49], -v[166:167]
	v_fma_f64 v[108:109], -0.5, v[56:57], v[72:73]
	v_add_f64 v[56:57], v[128:129], -v[134:135]
	v_mul_f64 v[126:127], v[112:113], v[42:43]
	v_fmac_f64_e32 v[124:125], v[110:111], v[48:49]
	v_fma_f64 v[98:99], v[112:113], v[40:41], -v[168:169]
	v_fma_f64 v[112:113], s[16:17], v[56:57], v[108:109]
	v_add_f64 v[58:59], v[130:131], -v[132:133]
	v_add_f64 v[106:107], v[60:61], -v[62:63]
	;; [unrolled: 1-line block ×3, first 2 shown]
	v_fmac_f64_e32 v[108:109], s[20:21], v[56:57]
	v_fmac_f64_e32 v[112:113], s[6:7], v[58:59]
	v_add_f64 v[106:107], v[106:107], v[110:111]
	v_fmac_f64_e32 v[108:109], s[22:23], v[58:59]
	v_fmac_f64_e32 v[112:113], s[18:19], v[106:107]
	v_fmac_f64_e32 v[108:109], s[18:19], v[106:107]
	v_add_f64 v[106:107], v[60:61], v[66:67]
	v_fmac_f64_e32 v[72:73], -0.5, v[106:107]
	v_fma_f64 v[136:137], s[20:21], v[58:59], v[72:73]
	v_fmac_f64_e32 v[72:73], s[16:17], v[58:59]
	v_fmac_f64_e32 v[136:137], s[6:7], v[56:57]
	;; [unrolled: 1-line block ×3, first 2 shown]
	v_add_f64 v[56:57], v[74:75], v[128:129]
	v_add_f64 v[106:107], v[62:63], -v[60:61]
	v_add_f64 v[110:111], v[64:65], -v[66:67]
	v_add_f64 v[56:57], v[56:57], v[130:131]
	v_add_f64 v[106:107], v[106:107], v[110:111]
	;; [unrolled: 1-line block ×3, first 2 shown]
	v_fmac_f64_e32 v[136:137], s[18:19], v[106:107]
	v_fmac_f64_e32 v[72:73], s[18:19], v[106:107]
	v_add_f64 v[106:107], v[56:57], v[134:135]
	v_add_f64 v[56:57], v[130:131], v[132:133]
	v_fma_f64 v[110:111], -0.5, v[56:57], v[74:75]
	v_add_f64 v[56:57], v[60:61], -v[66:67]
	v_fmac_f64_e32 v[126:127], v[114:115], v[40:41]
	v_fma_f64 v[114:115], s[20:21], v[56:57], v[110:111]
	v_add_f64 v[58:59], v[62:63], -v[64:65]
	v_add_f64 v[60:61], v[128:129], -v[130:131]
	;; [unrolled: 1-line block ×3, first 2 shown]
	v_fmac_f64_e32 v[110:111], s[16:17], v[56:57]
	v_fmac_f64_e32 v[114:115], s[22:23], v[58:59]
	v_add_f64 v[60:61], v[60:61], v[62:63]
	v_fmac_f64_e32 v[110:111], s[6:7], v[58:59]
	v_fmac_f64_e32 v[114:115], s[18:19], v[60:61]
	;; [unrolled: 1-line block ×3, first 2 shown]
	v_add_f64 v[60:61], v[128:129], v[134:135]
	v_fmac_f64_e32 v[74:75], -0.5, v[60:61]
	v_fma_f64 v[138:139], s[16:17], v[58:59], v[74:75]
	v_fmac_f64_e32 v[74:75], s[20:21], v[58:59]
	v_fmac_f64_e32 v[138:139], s[22:23], v[56:57]
	v_add_f64 v[60:61], v[130:131], -v[128:129]
	v_add_f64 v[62:63], v[132:133], -v[134:135]
	v_fmac_f64_e32 v[74:75], s[6:7], v[56:57]
	v_add_f64 v[56:57], v[94:95], v[96:97]
	v_add_f64 v[60:61], v[60:61], v[62:63]
	v_fma_f64 v[56:57], -0.5, v[56:57], v[68:69]
	v_add_f64 v[58:59], v[120:121], -v[126:127]
	v_fmac_f64_e32 v[138:139], s[18:19], v[60:61]
	v_fmac_f64_e32 v[74:75], s[18:19], v[60:61]
	v_fma_f64 v[148:149], s[16:17], v[58:59], v[56:57]
	v_add_f64 v[62:63], v[122:123], -v[124:125]
	v_add_f64 v[60:61], v[92:93], -v[94:95]
	;; [unrolled: 1-line block ×3, first 2 shown]
	v_fmac_f64_e32 v[56:57], s[20:21], v[58:59]
	v_fmac_f64_e32 v[148:149], s[6:7], v[62:63]
	v_add_f64 v[60:61], v[60:61], v[64:65]
	v_fmac_f64_e32 v[56:57], s[22:23], v[62:63]
	v_fmac_f64_e32 v[148:149], s[18:19], v[60:61]
	;; [unrolled: 1-line block ×3, first 2 shown]
	v_add_f64 v[60:61], v[92:93], v[98:99]
	v_fma_f64 v[64:65], -0.5, v[60:61], v[68:69]
	v_fma_f64 v[60:61], s[20:21], v[62:63], v[64:65]
	v_fmac_f64_e32 v[64:65], s[16:17], v[62:63]
	v_fmac_f64_e32 v[60:61], s[6:7], v[58:59]
	v_add_f64 v[66:67], v[94:95], -v[92:93]
	v_add_f64 v[128:129], v[96:97], -v[98:99]
	v_fmac_f64_e32 v[64:65], s[22:23], v[58:59]
	v_add_f64 v[58:59], v[122:123], v[124:125]
	v_add_f64 v[66:67], v[66:67], v[128:129]
	v_fma_f64 v[58:59], -0.5, v[58:59], v[70:71]
	v_add_f64 v[128:129], v[92:93], -v[98:99]
	v_fmac_f64_e32 v[60:61], s[18:19], v[66:67]
	v_fmac_f64_e32 v[64:65], s[18:19], v[66:67]
	v_fma_f64 v[150:151], s[20:21], v[128:129], v[58:59]
	v_add_f64 v[130:131], v[94:95], -v[96:97]
	v_add_f64 v[62:63], v[120:121], -v[122:123]
	;; [unrolled: 1-line block ×3, first 2 shown]
	v_fmac_f64_e32 v[58:59], s[16:17], v[128:129]
	v_fmac_f64_e32 v[150:151], s[22:23], v[130:131]
	v_add_f64 v[62:63], v[62:63], v[66:67]
	v_fmac_f64_e32 v[58:59], s[6:7], v[130:131]
	v_fmac_f64_e32 v[150:151], s[18:19], v[62:63]
	;; [unrolled: 1-line block ×3, first 2 shown]
	v_add_f64 v[62:63], v[120:121], v[126:127]
	v_fma_f64 v[66:67], -0.5, v[62:63], v[70:71]
	ds_write_b128 v208, v[100:103]
	ds_write_b128 v208, v[88:91] offset:32
	ds_write_b128 v208, v[84:87] offset:64
	;; [unrolled: 1-line block ×4, first 2 shown]
	v_lshrrev_b32_e32 v76, 1, v118
	v_fma_f64 v[62:63], s[16:17], v[130:131], v[66:67]
	v_add_f64 v[132:133], v[122:123], -v[120:121]
	v_add_f64 v[134:135], v[124:125], -v[126:127]
	v_fmac_f64_e32 v[66:67], s[20:21], v[130:131]
	v_mul_u32_u24_e32 v76, 10, v76
	v_fmac_f64_e32 v[62:63], s[22:23], v[128:129]
	v_add_f64 v[132:133], v[132:133], v[134:135]
	v_fmac_f64_e32 v[66:67], s[6:7], v[128:129]
	v_or_b32_e32 v76, v76, v197
	v_fmac_f64_e32 v[62:63], s[18:19], v[132:133]
	v_fmac_f64_e32 v[66:67], s[18:19], v[132:133]
	v_lshlrev_b32_e32 v209, 4, v76
	ds_write_b128 v209, v[104:107]
	ds_write_b128 v209, v[112:115] offset:32
	ds_write_b128 v209, v[136:139] offset:64
	;; [unrolled: 1-line block ×4, first 2 shown]
	s_and_saveexec_b64 s[6:7], s[2:3]
	s_cbranch_execz .LBB0_11
; %bb.10:
	v_add_f64 v[70:71], v[70:71], v[120:121]
	v_add_f64 v[68:69], v[68:69], v[92:93]
	;; [unrolled: 1-line block ×4, first 2 shown]
	v_mul_u32_u24_e32 v72, 10, v207
	v_add_f64 v[70:71], v[70:71], v[124:125]
	v_add_f64 v[68:69], v[68:69], v[96:97]
	v_or_b32_e32 v72, v72, v197
	v_add_f64 v[70:71], v[70:71], v[126:127]
	v_add_f64 v[68:69], v[68:69], v[98:99]
	v_lshlrev_b32_e32 v72, 4, v72
	ds_write_b128 v72, v[68:71]
	ds_write_b128 v72, v[148:151] offset:32
	ds_write_b128 v72, v[60:63] offset:64
	;; [unrolled: 1-line block ×4, first 2 shown]
.LBB0_11:
	s_or_b64 exec, exec, s[6:7]
	s_movk_i32 s6, 0xcd
	v_mul_lo_u16_sdwa v68, v200, s6 dst_sel:DWORD dst_unused:UNUSED_PAD src0_sel:BYTE_0 src1_sel:DWORD
	v_lshrrev_b16_e32 v134, 11, v68
	v_mul_lo_u16_e32 v68, 10, v134
	v_sub_u16_e32 v68, v200, v68
	v_and_b32_e32 v135, 0xff, v68
	s_movk_i32 s33, 0xa0
	v_mov_b64_e32 v[112:113], s[0:1]
	v_mad_u64_u32 v[100:101], s[0:1], v135, s33, v[112:113]
	s_waitcnt lgkmcnt(0)
	s_barrier
	global_load_dwordx4 v[80:83], v[100:101], off offset:128
	global_load_dwordx4 v[76:79], v[100:101], off offset:144
	;; [unrolled: 1-line block ×9, first 2 shown]
	s_nop 0
	global_load_dwordx4 v[100:103], v[100:101], off offset:272
	ds_read_b128 v[136:139], v196
	ds_read_b128 v[108:111], v196 offset:1760
	ds_read_b128 v[118:121], v196 offset:3520
	;; [unrolled: 1-line block ×10, first 2 shown]
	s_mov_b32 s24, 0xf8bb580b
	s_mov_b32 s38, 0x8eee2c13
	;; [unrolled: 1-line block ×28, first 2 shown]
	v_mul_u32_u24_e32 v134, 0x6e, v134
	s_waitcnt lgkmcnt(0)
	s_barrier
	v_lshlrev_b32_e32 v152, 4, v200
	s_waitcnt vmcnt(9)
	v_mul_f64 v[174:175], v[110:111], v[82:83]
	v_mul_f64 v[176:177], v[108:109], v[82:83]
	s_waitcnt vmcnt(8)
	v_mul_f64 v[178:179], v[120:121], v[78:79]
	v_mul_f64 v[180:181], v[118:119], v[78:79]
	s_waitcnt vmcnt(5)
	v_mul_f64 v[186:187], v[146:147], v[98:99]
	v_mul_f64 v[114:115], v[144:145], v[98:99]
	v_fma_f64 v[108:109], v[108:109], v[80:81], -v[174:175]
	v_fmac_f64_e32 v[176:177], v[110:111], v[80:81]
	v_mul_f64 v[182:183], v[128:129], v[74:75]
	s_waitcnt vmcnt(0)
	v_mul_f64 v[212:213], v[172:173], v[102:103]
	v_mul_f64 v[130:131], v[126:127], v[74:75]
	;; [unrolled: 1-line block ×4, first 2 shown]
	v_fma_f64 v[174:175], v[118:119], v[76:77], -v[178:179]
	v_fmac_f64_e32 v[180:181], v[120:121], v[76:77]
	v_fma_f64 v[118:119], v[144:145], v[96:97], -v[186:187]
	v_fmac_f64_e32 v[114:115], v[146:147], v[96:97]
	v_fma_f64 v[110:111], v[170:171], v[100:101], -v[212:213]
	v_add_f64 v[144:145], v[136:137], v[108:109]
	v_add_f64 v[146:147], v[138:139], v[176:177]
	v_mul_f64 v[184:185], v[142:143], v[70:71]
	v_mul_f64 v[122:123], v[140:141], v[70:71]
	;; [unrolled: 1-line block ×4, first 2 shown]
	v_fma_f64 v[178:179], v[126:127], v[72:73], -v[182:183]
	v_fmac_f64_e32 v[130:131], v[128:129], v[72:73]
	v_fma_f64 v[120:121], v[154:155], v[92:93], -v[188:189]
	v_fma_f64 v[128:129], v[158:159], v[88:89], -v[190:191]
	v_add_f64 v[154:155], v[108:109], v[110:111]
	v_add_f64 v[158:159], v[108:109], -v[110:111]
	v_add_f64 v[108:109], v[144:145], v[174:175]
	v_add_f64 v[144:145], v[146:147], v[180:181]
	v_fma_f64 v[126:127], v[140:141], v[68:69], -v[184:185]
	v_fmac_f64_e32 v[122:123], v[142:143], v[68:69]
	v_add_f64 v[108:109], v[108:109], v[178:179]
	v_add_f64 v[144:145], v[144:145], v[130:131]
	;; [unrolled: 1-line block ×4, first 2 shown]
	v_fmac_f64_e32 v[116:117], v[156:157], v[92:93]
	v_add_f64 v[108:109], v[108:109], v[118:119]
	v_add_f64 v[144:145], v[144:145], v[114:115]
	v_mul_f64 v[192:193], v[164:165], v[86:87]
	v_mul_f64 v[132:133], v[162:163], v[86:87]
	v_fmac_f64_e32 v[124:125], v[160:161], v[88:89]
	v_add_f64 v[108:109], v[108:109], v[120:121]
	v_add_f64 v[144:145], v[144:145], v[116:117]
	v_mul_f64 v[194:195], v[168:169], v[106:107]
	v_mul_f64 v[210:211], v[166:167], v[106:107]
	;; [unrolled: 1-line block ×3, first 2 shown]
	v_fma_f64 v[140:141], v[162:163], v[84:85], -v[192:193]
	v_fmac_f64_e32 v[132:133], v[164:165], v[84:85]
	v_add_f64 v[108:109], v[108:109], v[128:129]
	v_add_f64 v[144:145], v[144:145], v[124:125]
	v_fma_f64 v[142:143], v[166:167], v[104:105], -v[194:195]
	v_fmac_f64_e32 v[210:211], v[168:169], v[104:105]
	v_fmac_f64_e32 v[214:215], v[172:173], v[100:101]
	v_add_f64 v[108:109], v[108:109], v[140:141]
	v_add_f64 v[144:145], v[144:145], v[132:133]
	v_add_f64 v[160:161], v[176:177], -v[214:215]
	v_add_f64 v[108:109], v[108:109], v[142:143]
	v_add_f64 v[144:145], v[144:145], v[210:211]
	;; [unrolled: 1-line block ×5, first 2 shown]
	v_mul_f64 v[144:145], v[160:161], s[24:25]
	v_mul_f64 v[162:163], v[158:159], s[24:25]
	;; [unrolled: 1-line block ×10, first 2 shown]
	v_fma_f64 v[146:147], v[154:155], s[18:19], -v[144:145]
	v_fma_f64 v[164:165], s[18:19], v[156:157], v[162:163]
	v_fmac_f64_e32 v[144:145], s[18:19], v[154:155]
	v_fma_f64 v[162:163], v[156:157], s[18:19], -v[162:163]
	v_fma_f64 v[168:169], v[154:155], s[0:1], -v[166:167]
	v_fma_f64 v[172:173], s[0:1], v[156:157], v[170:171]
	v_fmac_f64_e32 v[166:167], s[0:1], v[154:155]
	v_fma_f64 v[170:171], v[156:157], s[0:1], -v[170:171]
	;; [unrolled: 4-line block ×5, first 2 shown]
	v_add_f64 v[158:159], v[180:181], -v[210:211]
	v_add_f64 v[146:147], v[136:137], v[146:147]
	v_add_f64 v[164:165], v[138:139], v[164:165]
	;; [unrolled: 1-line block ×21, first 2 shown]
	v_mul_f64 v[160:161], v[158:159], s[38:39]
	v_add_f64 v[142:143], v[174:175], -v[142:143]
	v_fma_f64 v[174:175], v[154:155], s[0:1], -v[160:161]
	v_add_f64 v[156:157], v[180:181], v[210:211]
	v_add_f64 v[146:147], v[174:175], v[146:147]
	v_mul_f64 v[174:175], v[142:143], s[38:39]
	v_fmac_f64_e32 v[160:161], s[0:1], v[154:155]
	v_add_f64 v[144:145], v[160:161], v[144:145]
	v_fma_f64 v[160:161], v[156:157], s[0:1], -v[174:175]
	v_add_f64 v[160:161], v[160:161], v[162:163]
	v_mul_f64 v[162:163], v[158:159], s[22:23]
	v_fma_f64 v[180:181], s[0:1], v[156:157], v[174:175]
	v_fma_f64 v[174:175], v[154:155], s[20:21], -v[162:163]
	v_add_f64 v[168:169], v[174:175], v[168:169]
	v_mul_f64 v[174:175], v[142:143], s[22:23]
	v_fmac_f64_e32 v[162:163], s[20:21], v[154:155]
	v_add_f64 v[162:163], v[162:163], v[166:167]
	v_fma_f64 v[166:167], v[156:157], s[20:21], -v[174:175]
	v_add_f64 v[164:165], v[180:181], v[164:165]
	v_fma_f64 v[180:181], s[20:21], v[156:157], v[174:175]
	v_add_f64 v[166:167], v[166:167], v[170:171]
	v_mul_f64 v[170:171], v[158:159], s[40:41]
	v_add_f64 v[172:173], v[180:181], v[172:173]
	v_fma_f64 v[174:175], v[154:155], s[26:27], -v[170:171]
	v_mul_f64 v[180:181], v[142:143], s[40:41]
	v_fmac_f64_e32 v[170:171], s[26:27], v[154:155]
	v_add_f64 v[174:175], v[174:175], v[182:183]
	v_fma_f64 v[182:183], s[26:27], v[156:157], v[180:181]
	v_add_f64 v[170:171], v[170:171], v[176:177]
	v_fma_f64 v[176:177], v[156:157], s[26:27], -v[180:181]
	v_mul_f64 v[180:181], v[158:159], s[36:37]
	v_add_f64 v[182:183], v[182:183], v[186:187]
	v_add_f64 v[176:177], v[176:177], v[184:185]
	v_fma_f64 v[184:185], v[154:155], s[6:7], -v[180:181]
	v_mul_f64 v[186:187], v[142:143], s[36:37]
	v_add_f64 v[184:185], v[184:185], v[190:191]
	v_fma_f64 v[190:191], s[6:7], v[156:157], v[186:187]
	v_fmac_f64_e32 v[180:181], s[6:7], v[154:155]
	v_fma_f64 v[186:187], v[156:157], s[6:7], -v[186:187]
	v_mul_f64 v[158:159], v[158:159], s[30:31]
	v_mul_f64 v[142:143], v[142:143], s[30:31]
	v_add_f64 v[180:181], v[180:181], v[188:189]
	v_add_f64 v[186:187], v[186:187], v[192:193]
	v_fma_f64 v[188:189], v[154:155], s[18:19], -v[158:159]
	v_fma_f64 v[192:193], s[18:19], v[156:157], v[142:143]
	v_fmac_f64_e32 v[158:159], s[18:19], v[154:155]
	v_fma_f64 v[142:143], v[156:157], s[18:19], -v[142:143]
	v_add_f64 v[154:155], v[130:131], v[132:133]
	v_add_f64 v[130:131], v[130:131], -v[132:133]
	v_add_f64 v[138:139], v[142:143], v[138:139]
	v_add_f64 v[142:143], v[178:179], v[140:141]
	v_mul_f64 v[132:133], v[130:131], s[16:17]
	v_add_f64 v[140:141], v[178:179], -v[140:141]
	v_fma_f64 v[156:157], v[142:143], s[6:7], -v[132:133]
	v_add_f64 v[146:147], v[156:157], v[146:147]
	v_mul_f64 v[156:157], v[140:141], s[16:17]
	v_fmac_f64_e32 v[132:133], s[6:7], v[142:143]
	v_add_f64 v[136:137], v[158:159], v[136:137]
	v_fma_f64 v[158:159], s[6:7], v[154:155], v[156:157]
	v_add_f64 v[132:133], v[132:133], v[144:145]
	v_fma_f64 v[144:145], v[154:155], s[6:7], -v[156:157]
	v_mul_f64 v[156:157], v[130:131], s[40:41]
	v_add_f64 v[158:159], v[158:159], v[164:165]
	v_add_f64 v[144:145], v[144:145], v[160:161]
	v_fma_f64 v[160:161], v[142:143], s[26:27], -v[156:157]
	v_mul_f64 v[164:165], v[140:141], s[40:41]
	v_fmac_f64_e32 v[156:157], s[26:27], v[142:143]
	v_add_f64 v[160:161], v[160:161], v[168:169]
	v_fma_f64 v[168:169], s[26:27], v[154:155], v[164:165]
	v_add_f64 v[156:157], v[156:157], v[162:163]
	v_fma_f64 v[162:163], v[154:155], s[26:27], -v[164:165]
	v_mul_f64 v[164:165], v[130:131], s[34:35]
	v_add_f64 v[168:169], v[168:169], v[172:173]
	v_add_f64 v[162:163], v[162:163], v[166:167]
	v_fma_f64 v[166:167], v[142:143], s[0:1], -v[164:165]
	v_mul_f64 v[172:173], v[140:141], s[34:35]
	v_fmac_f64_e32 v[164:165], s[0:1], v[142:143]
	v_add_f64 v[166:167], v[166:167], v[174:175]
	v_fma_f64 v[174:175], s[0:1], v[154:155], v[172:173]
	v_add_f64 v[164:165], v[164:165], v[170:171]
	v_fma_f64 v[170:171], v[154:155], s[0:1], -v[172:173]
	v_mul_f64 v[172:173], v[130:131], s[24:25]
	v_add_f64 v[170:171], v[170:171], v[176:177]
	v_fma_f64 v[176:177], v[142:143], s[18:19], -v[172:173]
	v_fmac_f64_e32 v[172:173], s[18:19], v[142:143]
	v_mul_f64 v[130:131], v[130:131], s[22:23]
	v_mul_f64 v[178:179], v[140:141], s[24:25]
	v_add_f64 v[172:173], v[172:173], v[180:181]
	v_fma_f64 v[180:181], v[142:143], s[20:21], -v[130:131]
	v_mul_f64 v[140:141], v[140:141], s[22:23]
	v_fmac_f64_e32 v[130:131], s[20:21], v[142:143]
	v_add_f64 v[176:177], v[176:177], v[184:185]
	v_fma_f64 v[184:185], s[20:21], v[154:155], v[140:141]
	v_add_f64 v[130:131], v[130:131], v[136:137]
	v_fma_f64 v[136:137], v[154:155], s[20:21], -v[140:141]
	v_add_f64 v[140:141], v[122:123], v[124:125]
	v_add_f64 v[122:123], v[122:123], -v[124:125]
	v_add_f64 v[136:137], v[136:137], v[138:139]
	v_add_f64 v[138:139], v[126:127], v[128:129]
	v_add_f64 v[126:127], v[126:127], -v[128:129]
	v_mul_f64 v[124:125], v[122:123], s[22:23]
	v_fma_f64 v[128:129], v[138:139], s[20:21], -v[124:125]
	v_mul_f64 v[142:143], v[126:127], s[22:23]
	v_fmac_f64_e32 v[124:125], s[20:21], v[138:139]
	v_add_f64 v[128:129], v[128:129], v[146:147]
	v_fma_f64 v[146:147], s[20:21], v[140:141], v[142:143]
	v_add_f64 v[124:125], v[124:125], v[132:133]
	v_fma_f64 v[132:133], v[140:141], s[20:21], -v[142:143]
	v_mul_f64 v[142:143], v[122:123], s[36:37]
	v_add_f64 v[174:175], v[174:175], v[182:183]
	v_fma_f64 v[182:183], s[18:19], v[154:155], v[178:179]
	v_fma_f64 v[178:179], v[154:155], s[18:19], -v[178:179]
	v_add_f64 v[132:133], v[132:133], v[144:145]
	v_fma_f64 v[144:145], v[138:139], s[6:7], -v[142:143]
	v_mul_f64 v[154:155], v[126:127], s[36:37]
	v_fmac_f64_e32 v[142:143], s[6:7], v[138:139]
	v_add_f64 v[146:147], v[146:147], v[158:159]
	v_fma_f64 v[158:159], s[6:7], v[140:141], v[154:155]
	v_add_f64 v[142:143], v[142:143], v[156:157]
	v_fma_f64 v[154:155], v[140:141], s[6:7], -v[154:155]
	v_mul_f64 v[156:157], v[122:123], s[24:25]
	v_add_f64 v[144:145], v[144:145], v[160:161]
	v_add_f64 v[154:155], v[154:155], v[162:163]
	v_fma_f64 v[160:161], v[138:139], s[18:19], -v[156:157]
	v_mul_f64 v[162:163], v[126:127], s[24:25]
	v_add_f64 v[160:161], v[160:161], v[166:167]
	v_fma_f64 v[166:167], s[18:19], v[140:141], v[162:163]
	v_fmac_f64_e32 v[156:157], s[18:19], v[138:139]
	v_fma_f64 v[162:163], v[140:141], s[18:19], -v[162:163]
	v_add_f64 v[190:191], v[190:191], v[194:195]
	v_add_f64 v[188:189], v[188:189], v[212:213]
	;; [unrolled: 1-line block ×4, first 2 shown]
	v_mul_f64 v[164:165], v[122:123], s[28:29]
	v_mul_f64 v[170:171], v[126:127], s[28:29]
	v_add_f64 v[192:193], v[192:193], v[214:215]
	v_add_f64 v[182:183], v[182:183], v[190:191]
	;; [unrolled: 1-line block ×5, first 2 shown]
	v_fma_f64 v[168:169], v[138:139], s[26:27], -v[164:165]
	v_fma_f64 v[174:175], s[26:27], v[140:141], v[170:171]
	v_fmac_f64_e32 v[164:165], s[26:27], v[138:139]
	v_mul_f64 v[122:123], v[122:123], s[34:35]
	v_mul_f64 v[126:127], v[126:127], s[34:35]
	v_add_f64 v[188:189], v[114:115], -v[116:117]
	v_add_f64 v[178:179], v[178:179], v[186:187]
	v_add_f64 v[184:185], v[184:185], v[192:193]
	;; [unrolled: 1-line block ×5, first 2 shown]
	v_fma_f64 v[170:171], v[140:141], s[26:27], -v[170:171]
	v_fma_f64 v[172:173], v[138:139], s[0:1], -v[122:123]
	v_fma_f64 v[176:177], s[0:1], v[140:141], v[126:127]
	v_fmac_f64_e32 v[122:123], s[0:1], v[138:139]
	v_add_f64 v[182:183], v[118:119], v[120:121]
	v_add_f64 v[186:187], v[118:119], -v[120:121]
	v_mul_f64 v[118:119], v[188:189], s[28:29]
	v_add_f64 v[170:171], v[170:171], v[178:179]
	v_add_f64 v[176:177], v[176:177], v[184:185]
	;; [unrolled: 1-line block ×3, first 2 shown]
	v_fma_f64 v[122:123], v[140:141], s[0:1], -v[126:127]
	v_add_f64 v[184:185], v[114:115], v[116:117]
	v_fma_f64 v[114:115], v[182:183], s[26:27], -v[118:119]
	v_mul_f64 v[126:127], v[188:189], s[30:31]
	v_add_f64 v[172:173], v[172:173], v[180:181]
	v_add_f64 v[180:181], v[122:123], v[136:137]
	;; [unrolled: 1-line block ×3, first 2 shown]
	v_mul_f64 v[120:121], v[186:187], s[28:29]
	v_fmac_f64_e32 v[118:119], s[26:27], v[182:183]
	v_fma_f64 v[122:123], v[182:183], s[18:19], -v[126:127]
	v_mul_f64 v[128:129], v[186:187], s[30:31]
	v_mul_f64 v[136:137], v[188:189], s[22:23]
	v_fma_f64 v[116:117], s[26:27], v[184:185], v[120:121]
	v_add_f64 v[118:119], v[118:119], v[124:125]
	v_add_f64 v[122:123], v[122:123], v[144:145]
	v_fma_f64 v[124:125], s[18:19], v[184:185], v[128:129]
	v_fma_f64 v[130:131], v[182:183], s[20:21], -v[136:137]
	v_mul_f64 v[144:145], v[188:189], s[34:35]
	v_add_f64 v[116:117], v[116:117], v[146:147]
	v_fma_f64 v[120:121], v[184:185], s[26:27], -v[120:121]
	v_add_f64 v[124:125], v[124:125], v[158:159]
	v_fmac_f64_e32 v[126:127], s[18:19], v[182:183]
	v_fma_f64 v[128:129], v[184:185], s[18:19], -v[128:129]
	v_add_f64 v[130:131], v[130:131], v[160:161]
	v_mul_f64 v[138:139], v[186:187], s[22:23]
	v_fmac_f64_e32 v[136:137], s[20:21], v[182:183]
	v_fma_f64 v[140:141], v[182:183], s[0:1], -v[144:145]
	v_mul_f64 v[146:147], v[186:187], s[34:35]
	v_mul_f64 v[158:159], v[188:189], s[16:17]
	;; [unrolled: 1-line block ×3, first 2 shown]
	v_add_f64 v[120:121], v[120:121], v[132:133]
	v_add_f64 v[126:127], v[126:127], v[142:143]
	v_add_f64 v[128:129], v[128:129], v[154:155]
	v_fma_f64 v[132:133], s[20:21], v[184:185], v[138:139]
	v_add_f64 v[136:137], v[136:137], v[156:157]
	v_fma_f64 v[138:139], v[184:185], s[20:21], -v[138:139]
	v_add_f64 v[140:141], v[140:141], v[168:169]
	v_fma_f64 v[142:143], s[0:1], v[184:185], v[146:147]
	v_fmac_f64_e32 v[144:145], s[0:1], v[182:183]
	v_fma_f64 v[146:147], v[184:185], s[0:1], -v[146:147]
	v_fma_f64 v[154:155], v[182:183], s[6:7], -v[158:159]
	v_fma_f64 v[156:157], s[6:7], v[184:185], v[160:161]
	v_fmac_f64_e32 v[158:159], s[6:7], v[182:183]
	v_fma_f64 v[160:161], v[184:185], s[6:7], -v[160:161]
	v_add_lshl_u32 v210, v134, v135, 4
	v_add_f64 v[132:133], v[132:133], v[166:167]
	v_add_f64 v[138:139], v[138:139], v[162:163]
	;; [unrolled: 1-line block ×9, first 2 shown]
	ds_write_b128 v210, v[108:111]
	ds_write_b128 v210, v[114:117] offset:160
	ds_write_b128 v210, v[122:125] offset:320
	;; [unrolled: 1-line block ×10, first 2 shown]
	v_mad_u64_u32 v[140:141], s[42:43], v200, s33, v[112:113]
	s_waitcnt lgkmcnt(0)
	s_barrier
	global_load_dwordx4 v[120:123], v[140:141], off offset:1728
	global_load_dwordx4 v[116:119], v[140:141], off offset:1744
	;; [unrolled: 1-line block ×9, first 2 shown]
	s_nop 0
	global_load_dwordx4 v[140:143], v[140:141], off offset:1872
	ds_read_b128 v[176:179], v196
	ds_read_b128 v[154:157], v196 offset:1760
	ds_read_b128 v[158:161], v196 offset:3520
	;; [unrolled: 1-line block ×10, first 2 shown]
	s_waitcnt vmcnt(9) lgkmcnt(9)
	v_mul_f64 v[166:167], v[156:157], v[122:123]
	v_fma_f64 v[220:221], v[154:155], v[120:121], -v[166:167]
	v_mul_f64 v[222:223], v[154:155], v[122:123]
	s_waitcnt vmcnt(8) lgkmcnt(8)
	v_mul_f64 v[154:155], v[160:161], v[118:119]
	v_fma_f64 v[224:225], v[158:159], v[116:117], -v[154:155]
	s_waitcnt vmcnt(7) lgkmcnt(7)
	v_mul_f64 v[154:155], v[164:165], v[114:115]
	v_fmac_f64_e32 v[222:223], v[156:157], v[120:121]
	v_fma_f64 v[228:229], v[162:163], v[112:113], -v[154:155]
	s_waitcnt vmcnt(6) lgkmcnt(6)
	v_mul_f64 v[154:155], v[172:173], v[110:111]
	s_waitcnt vmcnt(4) lgkmcnt(4)
	v_mul_f64 v[156:157], v[186:187], v[134:135]
	v_mul_f64 v[230:231], v[162:163], v[114:115]
	v_fma_f64 v[168:169], v[170:171], v[108:109], -v[154:155]
	v_mul_f64 v[170:171], v[170:171], v[110:111]
	v_fma_f64 v[162:163], v[184:185], v[132:133], -v[156:157]
	s_waitcnt vmcnt(3) lgkmcnt(3)
	v_mul_f64 v[156:157], v[190:191], v[130:131]
	v_mul_f64 v[226:227], v[158:159], v[118:119]
	v_fmac_f64_e32 v[170:171], v[172:173], v[108:109]
	v_fma_f64 v[172:173], v[188:189], v[128:129], -v[156:157]
	s_waitcnt vmcnt(2) lgkmcnt(2)
	v_mul_f64 v[156:157], v[194:195], v[126:127]
	v_fmac_f64_e32 v[226:227], v[160:161], v[116:117]
	v_fmac_f64_e32 v[230:231], v[164:165], v[112:113]
	v_mul_f64 v[160:161], v[180:181], v[138:139]
	v_fma_f64 v[164:165], v[192:193], v[124:125], -v[156:157]
	s_waitcnt vmcnt(1) lgkmcnt(1)
	v_mul_f64 v[156:157], v[214:215], v[146:147]
	v_mul_f64 v[154:155], v[182:183], v[138:139]
	v_fmac_f64_e32 v[160:161], v[182:183], v[136:137]
	v_mul_f64 v[166:167], v[184:185], v[134:135]
	v_fma_f64 v[182:183], v[212:213], v[144:145], -v[156:157]
	s_waitcnt vmcnt(0) lgkmcnt(0)
	v_mul_f64 v[156:157], v[218:219], v[142:143]
	v_fmac_f64_e32 v[166:167], v[186:187], v[132:133]
	v_fma_f64 v[186:187], v[216:217], v[140:141], -v[156:157]
	v_add_f64 v[156:157], v[176:177], v[220:221]
	v_add_f64 v[158:159], v[178:179], v[222:223]
	;; [unrolled: 1-line block ×6, first 2 shown]
	v_fma_f64 v[154:155], v[180:181], v[136:137], -v[154:155]
	v_add_f64 v[156:157], v[156:157], v[168:169]
	v_add_f64 v[158:159], v[158:159], v[170:171]
	v_mul_f64 v[174:175], v[188:189], v[130:131]
	v_add_f64 v[156:157], v[156:157], v[154:155]
	v_add_f64 v[158:159], v[158:159], v[160:161]
	v_fmac_f64_e32 v[174:175], v[190:191], v[128:129]
	v_mul_f64 v[180:181], v[192:193], v[126:127]
	v_add_f64 v[156:157], v[156:157], v[162:163]
	v_add_f64 v[158:159], v[158:159], v[166:167]
	v_fmac_f64_e32 v[180:181], v[194:195], v[124:125]
	;; [unrolled: 4-line block ×4, first 2 shown]
	v_add_f64 v[156:157], v[156:157], v[182:183]
	v_add_f64 v[158:159], v[158:159], v[184:185]
	;; [unrolled: 1-line block ×6, first 2 shown]
	v_add_f64 v[186:187], v[220:221], -v[186:187]
	v_add_f64 v[188:189], v[222:223], -v[188:189]
	v_mul_f64 v[194:195], v[188:189], s[24:25]
	v_mul_f64 v[214:215], v[186:187], s[24:25]
	;; [unrolled: 1-line block ×6, first 2 shown]
	v_fma_f64 v[212:213], v[190:191], s[18:19], -v[194:195]
	v_fma_f64 v[216:217], s[18:19], v[192:193], v[214:215]
	v_fmac_f64_e32 v[194:195], s[18:19], v[190:191]
	v_fma_f64 v[220:221], v[190:191], s[0:1], -v[218:219]
	v_fmac_f64_e32 v[218:219], s[0:1], v[190:191]
	v_fma_f64 v[232:233], v[190:191], s[6:7], -v[222:223]
	;; [unrolled: 2-line block ×4, first 2 shown]
	v_fmac_f64_e32 v[188:189], s[26:27], v[190:191]
	v_mul_f64 v[190:191], v[186:187], s[38:39]
	v_mul_f64 v[242:243], v[186:187], s[16:17]
	;; [unrolled: 1-line block ×4, first 2 shown]
	v_fma_f64 v[214:215], v[192:193], s[18:19], -v[214:215]
	v_fma_f64 v[240:241], s[0:1], v[192:193], v[190:191]
	v_fma_f64 v[190:191], v[192:193], s[0:1], -v[190:191]
	v_fma_f64 v[244:245], s[6:7], v[192:193], v[242:243]
	;; [unrolled: 2-line block ×4, first 2 shown]
	v_fma_f64 v[186:187], v[192:193], s[26:27], -v[186:187]
	v_add_f64 v[192:193], v[176:177], v[212:213]
	v_add_f64 v[212:213], v[178:179], v[216:217]
	;; [unrolled: 1-line block ×12, first 2 shown]
	v_add_f64 v[184:185], v[226:227], -v[184:185]
	v_add_f64 v[214:215], v[178:179], v[214:215]
	v_add_f64 v[220:221], v[178:179], v[240:241]
	;; [unrolled: 1-line block ×10, first 2 shown]
	v_add_f64 v[182:183], v[224:225], -v[182:183]
	v_mul_f64 v[224:225], v[184:185], s[38:39]
	v_fma_f64 v[226:227], v[186:187], s[0:1], -v[224:225]
	v_add_f64 v[192:193], v[226:227], v[192:193]
	v_mul_f64 v[226:227], v[182:183], s[38:39]
	v_fmac_f64_e32 v[224:225], s[0:1], v[186:187]
	v_add_f64 v[194:195], v[224:225], v[194:195]
	v_fma_f64 v[224:225], v[188:189], s[0:1], -v[226:227]
	v_add_f64 v[214:215], v[224:225], v[214:215]
	v_mul_f64 v[224:225], v[184:185], s[22:23]
	v_fma_f64 v[250:251], s[0:1], v[188:189], v[226:227]
	v_fma_f64 v[226:227], v[186:187], s[20:21], -v[224:225]
	v_add_f64 v[216:217], v[226:227], v[216:217]
	v_mul_f64 v[226:227], v[182:183], s[22:23]
	v_fmac_f64_e32 v[224:225], s[20:21], v[186:187]
	v_add_f64 v[218:219], v[224:225], v[218:219]
	v_fma_f64 v[224:225], v[188:189], s[20:21], -v[226:227]
	v_add_f64 v[190:191], v[224:225], v[190:191]
	v_mul_f64 v[224:225], v[184:185], s[40:41]
	v_add_f64 v[212:213], v[250:251], v[212:213]
	v_fma_f64 v[250:251], s[20:21], v[188:189], v[226:227]
	v_fma_f64 v[226:227], v[186:187], s[26:27], -v[224:225]
	v_add_f64 v[226:227], v[226:227], v[232:233]
	v_mul_f64 v[232:233], v[182:183], s[40:41]
	v_fmac_f64_e32 v[224:225], s[26:27], v[186:187]
	v_add_f64 v[220:221], v[250:251], v[220:221]
	v_fma_f64 v[250:251], s[26:27], v[188:189], v[232:233]
	v_add_f64 v[222:223], v[224:225], v[222:223]
	v_fma_f64 v[224:225], v[188:189], s[26:27], -v[232:233]
	v_mul_f64 v[232:233], v[184:185], s[36:37]
	v_add_f64 v[224:225], v[224:225], v[242:243]
	v_fma_f64 v[242:243], v[186:187], s[6:7], -v[232:233]
	v_add_f64 v[236:237], v[242:243], v[236:237]
	v_mul_f64 v[242:243], v[182:183], s[36:37]
	v_fmac_f64_e32 v[232:233], s[6:7], v[186:187]
	v_mul_f64 v[184:185], v[184:185], s[30:31]
	v_add_f64 v[240:241], v[250:251], v[240:241]
	v_fma_f64 v[250:251], s[6:7], v[188:189], v[242:243]
	v_add_f64 v[232:233], v[232:233], v[234:235]
	v_fma_f64 v[234:235], v[188:189], s[6:7], -v[242:243]
	v_fma_f64 v[242:243], v[186:187], s[18:19], -v[184:185]
	v_mul_f64 v[182:183], v[182:183], s[30:31]
	v_add_f64 v[238:239], v[242:243], v[238:239]
	v_fma_f64 v[242:243], s[18:19], v[188:189], v[182:183]
	v_fmac_f64_e32 v[184:185], s[18:19], v[186:187]
	v_fma_f64 v[182:183], v[188:189], s[18:19], -v[182:183]
	v_add_f64 v[186:187], v[230:231], v[180:181]
	v_add_f64 v[180:181], v[230:231], -v[180:181]
	v_add_f64 v[176:177], v[184:185], v[176:177]
	v_add_f64 v[178:179], v[182:183], v[178:179]
	;; [unrolled: 1-line block ×3, first 2 shown]
	v_add_f64 v[184:185], v[228:229], -v[164:165]
	v_mul_f64 v[164:165], v[180:181], s[16:17]
	v_fma_f64 v[188:189], v[182:183], s[6:7], -v[164:165]
	v_add_f64 v[188:189], v[188:189], v[192:193]
	v_mul_f64 v[192:193], v[184:185], s[16:17]
	v_fmac_f64_e32 v[164:165], s[6:7], v[182:183]
	v_add_f64 v[194:195], v[164:165], v[194:195]
	v_fma_f64 v[164:165], v[186:187], s[6:7], -v[192:193]
	v_fma_f64 v[228:229], s[6:7], v[186:187], v[192:193]
	v_add_f64 v[192:193], v[164:165], v[214:215]
	v_mul_f64 v[164:165], v[180:181], s[40:41]
	v_fma_f64 v[214:215], v[182:183], s[26:27], -v[164:165]
	v_add_f64 v[214:215], v[214:215], v[216:217]
	v_mul_f64 v[216:217], v[184:185], s[40:41]
	v_fmac_f64_e32 v[164:165], s[26:27], v[182:183]
	v_add_f64 v[218:219], v[164:165], v[218:219]
	v_fma_f64 v[164:165], v[186:187], s[26:27], -v[216:217]
	v_add_f64 v[190:191], v[164:165], v[190:191]
	v_mul_f64 v[164:165], v[180:181], s[34:35]
	v_add_f64 v[212:213], v[228:229], v[212:213]
	v_fma_f64 v[228:229], s[26:27], v[186:187], v[216:217]
	v_fma_f64 v[216:217], v[182:183], s[0:1], -v[164:165]
	v_add_f64 v[216:217], v[216:217], v[226:227]
	v_mul_f64 v[226:227], v[184:185], s[34:35]
	v_fmac_f64_e32 v[164:165], s[0:1], v[182:183]
	v_add_f64 v[222:223], v[164:165], v[222:223]
	v_fma_f64 v[164:165], v[186:187], s[0:1], -v[226:227]
	v_add_f64 v[224:225], v[164:165], v[224:225]
	v_mul_f64 v[164:165], v[180:181], s[24:25]
	v_add_f64 v[220:221], v[228:229], v[220:221]
	v_fma_f64 v[228:229], s[0:1], v[186:187], v[226:227]
	v_fma_f64 v[226:227], v[182:183], s[18:19], -v[164:165]
	v_mul_f64 v[230:231], v[184:185], s[24:25]
	v_fmac_f64_e32 v[164:165], s[18:19], v[182:183]
	v_mul_f64 v[180:181], v[180:181], s[22:23]
	v_add_f64 v[226:227], v[226:227], v[236:237]
	v_fma_f64 v[236:237], s[18:19], v[186:187], v[230:231]
	v_add_f64 v[232:233], v[164:165], v[232:233]
	v_lshl_add_u64 v[164:165], s[14:15], 0, v[152:153]
	v_fma_f64 v[152:153], v[186:187], s[18:19], -v[230:231]
	v_fma_f64 v[230:231], v[182:183], s[20:21], -v[180:181]
	v_mul_f64 v[184:185], v[184:185], s[22:23]
	v_fmac_f64_e32 v[180:181], s[20:21], v[182:183]
	v_add_f64 v[176:177], v[180:181], v[176:177]
	v_fma_f64 v[180:181], v[186:187], s[20:21], -v[184:185]
	v_add_f64 v[182:183], v[170:171], v[174:175]
	v_add_f64 v[170:171], v[170:171], -v[174:175]
	v_add_f64 v[234:235], v[234:235], v[246:247]
	v_add_f64 v[178:179], v[180:181], v[178:179]
	;; [unrolled: 1-line block ×3, first 2 shown]
	v_add_f64 v[168:169], v[168:169], -v[172:173]
	v_mul_f64 v[172:173], v[170:171], s[22:23]
	v_add_f64 v[152:153], v[152:153], v[234:235]
	v_fma_f64 v[234:235], s[20:21], v[186:187], v[184:185]
	v_fma_f64 v[174:175], v[180:181], s[20:21], -v[172:173]
	v_mul_f64 v[184:185], v[168:169], s[22:23]
	v_fmac_f64_e32 v[172:173], s[20:21], v[180:181]
	v_fma_f64 v[186:187], s[20:21], v[182:183], v[184:185]
	v_add_f64 v[172:173], v[172:173], v[194:195]
	v_mul_f64 v[194:195], v[168:169], s[36:37]
	v_add_f64 v[174:175], v[174:175], v[188:189]
	v_add_f64 v[186:187], v[186:187], v[212:213]
	v_fma_f64 v[184:185], v[182:183], s[20:21], -v[184:185]
	v_mul_f64 v[188:189], v[170:171], s[36:37]
	v_fma_f64 v[212:213], s[6:7], v[182:183], v[194:195]
	v_fma_f64 v[194:195], v[182:183], s[6:7], -v[194:195]
	v_add_f64 v[184:185], v[184:185], v[192:193]
	v_fma_f64 v[192:193], v[180:181], s[6:7], -v[188:189]
	v_add_f64 v[190:191], v[194:195], v[190:191]
	v_mul_f64 v[194:195], v[170:171], s[24:25]
	v_add_f64 v[192:193], v[192:193], v[214:215]
	v_fma_f64 v[214:215], v[180:181], s[18:19], -v[194:195]
	v_fmac_f64_e32 v[188:189], s[6:7], v[180:181]
	v_add_f64 v[214:215], v[214:215], v[216:217]
	v_mul_f64 v[216:217], v[168:169], s[24:25]
	v_add_f64 v[212:213], v[212:213], v[220:221]
	v_add_f64 v[188:189], v[188:189], v[218:219]
	v_fma_f64 v[218:219], s[18:19], v[182:183], v[216:217]
	v_fmac_f64_e32 v[194:195], s[18:19], v[180:181]
	v_fma_f64 v[216:217], v[182:183], s[18:19], -v[216:217]
	v_mul_f64 v[220:221], v[170:171], s[28:29]
	v_add_f64 v[194:195], v[194:195], v[222:223]
	v_add_f64 v[216:217], v[216:217], v[224:225]
	v_fma_f64 v[222:223], v[180:181], s[26:27], -v[220:221]
	v_mul_f64 v[224:225], v[168:169], s[28:29]
	v_add_f64 v[222:223], v[222:223], v[226:227]
	v_fma_f64 v[226:227], s[26:27], v[182:183], v[224:225]
	v_fma_f64 v[224:225], v[182:183], s[26:27], -v[224:225]
	v_add_f64 v[224:225], v[224:225], v[152:153]
	v_mul_f64 v[152:153], v[170:171], s[34:35]
	v_add_f64 v[244:245], v[250:251], v[244:245]
	v_add_f64 v[242:243], v[242:243], v[248:249]
	;; [unrolled: 1-line block ×4, first 2 shown]
	v_fmac_f64_e32 v[220:221], s[26:27], v[180:181]
	v_fma_f64 v[170:171], v[180:181], s[0:1], -v[152:153]
	v_mul_f64 v[168:169], v[168:169], s[34:35]
	v_fmac_f64_e32 v[152:153], s[0:1], v[180:181]
	v_add_f64 v[236:237], v[236:237], v[244:245]
	v_add_f64 v[234:235], v[234:235], v[242:243]
	v_add_f64 v[218:219], v[218:219], v[228:229]
	v_add_f64 v[220:221], v[220:221], v[232:233]
	v_add_f64 v[228:229], v[170:171], v[230:231]
	v_fma_f64 v[170:171], s[0:1], v[182:183], v[168:169]
	v_add_f64 v[232:233], v[152:153], v[176:177]
	v_fma_f64 v[152:153], v[182:183], s[0:1], -v[168:169]
	v_add_f64 v[242:243], v[160:161], -v[166:167]
	v_add_f64 v[226:227], v[226:227], v[236:237]
	v_add_f64 v[230:231], v[170:171], v[234:235]
	;; [unrolled: 1-line block ×4, first 2 shown]
	v_mul_f64 v[152:153], v[242:243], s[28:29]
	v_add_f64 v[240:241], v[154:155], -v[162:163]
	v_fma_f64 v[154:155], v[236:237], s[26:27], -v[152:153]
	v_fmac_f64_e32 v[152:153], s[26:27], v[236:237]
	v_mul_f64 v[178:179], v[242:243], s[22:23]
	v_add_f64 v[238:239], v[160:161], v[166:167]
	v_add_f64 v[160:161], v[154:155], v[174:175]
	v_mul_f64 v[154:155], v[240:241], s[28:29]
	v_add_f64 v[152:153], v[152:153], v[172:173]
	v_mul_f64 v[170:171], v[242:243], s[30:31]
	v_mul_f64 v[172:173], v[240:241], s[30:31]
	v_fma_f64 v[174:175], v[236:237], s[20:21], -v[178:179]
	v_fmac_f64_e32 v[178:179], s[20:21], v[236:237]
	v_fma_f64 v[162:163], s[26:27], v[238:239], v[154:155]
	v_fma_f64 v[166:167], v[236:237], s[18:19], -v[170:171]
	v_fma_f64 v[168:169], s[18:19], v[238:239], v[172:173]
	v_fmac_f64_e32 v[170:171], s[18:19], v[236:237]
	v_fma_f64 v[172:173], v[238:239], s[18:19], -v[172:173]
	v_add_f64 v[178:179], v[178:179], v[194:195]
	v_mul_f64 v[194:195], v[242:243], s[16:17]
	v_add_f64 v[162:163], v[162:163], v[186:187]
	v_fma_f64 v[154:155], v[238:239], s[26:27], -v[154:155]
	v_add_f64 v[170:171], v[170:171], v[188:189]
	v_add_f64 v[172:173], v[172:173], v[190:191]
	;; [unrolled: 1-line block ×3, first 2 shown]
	v_mul_f64 v[180:181], v[240:241], s[22:23]
	v_mul_f64 v[186:187], v[242:243], s[34:35]
	;; [unrolled: 1-line block ×3, first 2 shown]
	v_fma_f64 v[190:191], v[236:237], s[6:7], -v[194:195]
	v_mul_f64 v[214:215], v[240:241], s[16:17]
	v_fmac_f64_e32 v[194:195], s[6:7], v[236:237]
	v_add_f64 v[154:155], v[154:155], v[184:185]
	v_add_f64 v[166:167], v[166:167], v[192:193]
	;; [unrolled: 1-line block ×3, first 2 shown]
	v_fma_f64 v[176:177], s[20:21], v[238:239], v[180:181]
	v_fma_f64 v[180:181], v[238:239], s[20:21], -v[180:181]
	v_fma_f64 v[182:183], v[236:237], s[0:1], -v[186:187]
	v_fma_f64 v[184:185], s[0:1], v[238:239], v[188:189]
	v_fmac_f64_e32 v[186:187], s[0:1], v[236:237]
	v_fma_f64 v[188:189], v[238:239], s[0:1], -v[188:189]
	v_fma_f64 v[192:193], s[6:7], v[238:239], v[214:215]
	v_add_f64 v[212:213], v[194:195], v[232:233]
	v_fma_f64 v[194:195], v[238:239], s[6:7], -v[214:215]
	s_movk_i32 s6, 0x4000
	v_add_f64 v[176:177], v[176:177], v[218:219]
	v_add_f64 v[180:181], v[180:181], v[216:217]
	;; [unrolled: 1-line block ×9, first 2 shown]
	ds_write_b128 v196, v[156:159]
	ds_write_b128 v196, v[160:163] offset:1760
	ds_write_b128 v196, v[166:169] offset:3520
	;; [unrolled: 1-line block ×10, first 2 shown]
	v_add_co_u32_e32 v156, vcc, s6, v164
	s_movk_i32 s0, 0x7000
	s_nop 0
	v_addc_co_u32_e32 v157, vcc, 0, v165, vcc
	v_add_co_u32_e32 v180, vcc, s0, v164
	s_waitcnt lgkmcnt(0)
	s_barrier
	global_load_dwordx4 v[156:159], v[156:157], off offset:2976
	v_addc_co_u32_e32 v181, vcc, 0, v165, vcc
	global_load_dwordx4 v[160:163], v[180:181], off offset:368
	s_mov_b64 s[0:1], 0x4ba0
	v_lshl_add_u64 v[166:167], v[164:165], 0, s[0:1]
	global_load_dwordx4 v[168:171], v[166:167], off offset:1760
	global_load_dwordx4 v[172:175], v[180:181], off offset:2128
	;; [unrolled: 1-line block ×3, first 2 shown]
	s_nop 0
	global_load_dwordx4 v[180:183], v[180:181], off offset:3888
	s_movk_i32 s0, 0x6000
	v_add_co_u32_e32 v192, vcc, s0, v164
	s_mov_b32 s0, 0x8000
	s_nop 0
	v_addc_co_u32_e32 v193, vcc, 0, v165, vcc
	global_load_dwordx4 v[184:187], v[192:193], off offset:64
	v_add_co_u32_e32 v164, vcc, s0, v164
	s_nop 1
	v_addc_co_u32_e32 v165, vcc, 0, v165, vcc
	global_load_dwordx4 v[188:191], v[164:165], off offset:1552
	s_nop 0
	global_load_dwordx4 v[192:195], v[192:193], off offset:1824
	s_nop 0
	global_load_dwordx4 v[212:215], v[164:165], off offset:3312
	ds_read_b128 v[216:219], v196
	ds_read_b128 v[220:223], v196 offset:1760
	ds_read_b128 v[228:231], v196 offset:9680
	s_waitcnt vmcnt(9) lgkmcnt(2)
	v_mul_f64 v[164:165], v[218:219], v[158:159]
	v_mul_f64 v[226:227], v[216:217], v[158:159]
	v_fma_f64 v[224:225], v[216:217], v[156:157], -v[164:165]
	v_fmac_f64_e32 v[226:227], v[218:219], v[156:157]
	ds_read_b128 v[156:159], v196 offset:7040
	s_waitcnt vmcnt(8) lgkmcnt(1)
	v_mul_f64 v[164:165], v[230:231], v[162:163]
	v_mul_f64 v[218:219], v[228:229], v[162:163]
	v_fma_f64 v[216:217], v[228:229], v[160:161], -v[164:165]
	v_fmac_f64_e32 v[218:219], v[230:231], v[160:161]
	ds_write_b128 v196, v[216:219] offset:9680
	ds_read_b128 v[216:219], v196 offset:11440
	s_waitcnt vmcnt(7)
	v_mul_f64 v[160:161], v[222:223], v[170:171]
	v_mul_f64 v[162:163], v[220:221], v[170:171]
	v_fma_f64 v[160:161], v[220:221], v[168:169], -v[160:161]
	v_fmac_f64_e32 v[162:163], v[222:223], v[168:169]
	ds_read_b128 v[220:223], v196 offset:3520
	ds_write_b128 v196, v[160:163] offset:1760
	ds_read_b128 v[160:163], v196 offset:13200
	s_waitcnt vmcnt(6) lgkmcnt(3)
	v_mul_f64 v[164:165], v[218:219], v[174:175]
	v_mul_f64 v[170:171], v[216:217], v[174:175]
	v_fma_f64 v[168:169], v[216:217], v[172:173], -v[164:165]
	v_fmac_f64_e32 v[170:171], v[218:219], v[172:173]
	ds_write_b128 v196, v[168:171] offset:11440
	ds_read_b128 v[168:171], v196 offset:5280
	s_waitcnt vmcnt(5) lgkmcnt(4)
	v_mul_f64 v[164:165], v[222:223], v[178:179]
	v_mul_f64 v[174:175], v[220:221], v[178:179]
	v_fma_f64 v[172:173], v[220:221], v[176:177], -v[164:165]
	v_fmac_f64_e32 v[174:175], v[222:223], v[176:177]
	ds_write_b128 v196, v[172:175] offset:3520
	s_waitcnt vmcnt(4) lgkmcnt(3)
	v_mul_f64 v[164:165], v[162:163], v[182:183]
	v_mul_f64 v[174:175], v[160:161], v[182:183]
	v_fma_f64 v[172:173], v[160:161], v[180:181], -v[164:165]
	v_fmac_f64_e32 v[174:175], v[162:163], v[180:181]
	ds_write_b128 v196, v[172:175] offset:13200
	ds_read_b128 v[172:175], v196 offset:14960
	s_waitcnt vmcnt(3) lgkmcnt(3)
	v_mul_f64 v[160:161], v[170:171], v[186:187]
	v_mul_f64 v[162:163], v[168:169], v[186:187]
	v_fma_f64 v[160:161], v[168:169], v[184:185], -v[160:161]
	v_fmac_f64_e32 v[162:163], v[170:171], v[184:185]
	ds_write_b128 v196, v[160:163] offset:5280
	ds_read_b128 v[160:163], v196 offset:16720
	s_waitcnt vmcnt(2) lgkmcnt(2)
	v_mul_f64 v[164:165], v[174:175], v[190:191]
	v_mul_f64 v[170:171], v[172:173], v[190:191]
	v_fma_f64 v[168:169], v[172:173], v[188:189], -v[164:165]
	v_fmac_f64_e32 v[170:171], v[174:175], v[188:189]
	ds_write_b128 v196, v[168:171] offset:14960
	s_waitcnt vmcnt(1)
	v_mul_f64 v[164:165], v[158:159], v[194:195]
	v_mul_f64 v[170:171], v[156:157], v[194:195]
	v_fma_f64 v[168:169], v[156:157], v[192:193], -v[164:165]
	v_fmac_f64_e32 v[170:171], v[158:159], v[192:193]
	s_waitcnt vmcnt(0) lgkmcnt(1)
	v_mul_f64 v[156:157], v[162:163], v[214:215]
	v_mul_f64 v[158:159], v[160:161], v[214:215]
	v_fma_f64 v[156:157], v[160:161], v[212:213], -v[156:157]
	v_fmac_f64_e32 v[158:159], v[162:163], v[212:213]
	ds_write_b128 v196, v[224:227]
	ds_write_b128 v196, v[168:171] offset:7040
	ds_write_b128 v196, v[156:159] offset:16720
	s_and_saveexec_b64 s[0:1], s[4:5]
	s_cbranch_execz .LBB0_13
; %bb.12:
	v_add_co_u32_e32 v156, vcc, 0x2000, v166
	s_nop 1
	v_addc_co_u32_e32 v157, vcc, 0, v167, vcc
	v_add_co_u32_e32 v160, vcc, s6, v166
	global_load_dwordx4 v[156:159], v[156:157], off offset:608
	s_nop 0
	v_addc_co_u32_e32 v161, vcc, 0, v167, vcc
	global_load_dwordx4 v[160:163], v[160:161], off offset:2096
	ds_read_b128 v[164:167], v196 offset:8800
	ds_read_b128 v[168:171], v196 offset:18480
	s_waitcnt vmcnt(1) lgkmcnt(1)
	v_mul_f64 v[172:173], v[166:167], v[158:159]
	v_mul_f64 v[174:175], v[164:165], v[158:159]
	v_fma_f64 v[172:173], v[164:165], v[156:157], -v[172:173]
	s_waitcnt vmcnt(0) lgkmcnt(0)
	v_mul_f64 v[176:177], v[170:171], v[162:163]
	v_mul_f64 v[158:159], v[168:169], v[162:163]
	v_fmac_f64_e32 v[174:175], v[166:167], v[156:157]
	v_fma_f64 v[156:157], v[168:169], v[160:161], -v[176:177]
	v_fmac_f64_e32 v[158:159], v[170:171], v[160:161]
	ds_write_b128 v196, v[172:175] offset:8800
	ds_write_b128 v196, v[156:159] offset:18480
.LBB0_13:
	s_or_b64 exec, exec, s[0:1]
	s_waitcnt lgkmcnt(0)
	s_barrier
	ds_read_b128 v[188:191], v196
	ds_read_b128 v[180:183], v196 offset:1760
	ds_read_b128 v[184:187], v196 offset:11440
	;; [unrolled: 1-line block ×9, first 2 shown]
	v_add_u32_e32 v211, 0x2940, v206
	v_add_u32_e32 v206, 0x3700, v206
	s_and_saveexec_b64 s[0:1], s[4:5]
	s_cbranch_execz .LBB0_15
; %bb.14:
	ds_read_b128 v[152:155], v196 offset:8800
	ds_read_b128 v[148:151], v196 offset:18480
.LBB0_15:
	s_or_b64 exec, exec, s[0:1]
	s_waitcnt lgkmcnt(0)
	v_add_f64 v[160:161], v[156:157], -v[160:161]
	v_add_f64 v[162:163], v[158:159], -v[162:163]
	;; [unrolled: 1-line block ×4, first 2 shown]
	v_fma_f64 v[212:213], v[156:157], 2.0, -v[160:161]
	v_fma_f64 v[214:215], v[158:159], 2.0, -v[162:163]
	v_add_f64 v[156:157], v[152:153], -v[148:149]
	v_add_f64 v[158:159], v[154:155], -v[150:151]
	v_fma_f64 v[188:189], v[188:189], 2.0, -v[192:193]
	v_fma_f64 v[190:191], v[190:191], 2.0, -v[194:195]
	v_add_f64 v[184:185], v[180:181], -v[184:185]
	v_add_f64 v[186:187], v[182:183], -v[186:187]
	;; [unrolled: 1-line block ×6, first 2 shown]
	v_fma_f64 v[148:149], v[152:153], 2.0, -v[156:157]
	v_fma_f64 v[150:151], v[154:155], 2.0, -v[158:159]
	;; [unrolled: 1-line block ×8, first 2 shown]
	s_barrier
	ds_write_b128 v203, v[188:191]
	ds_write_b128 v203, v[192:195] offset:16
	ds_write_b128 v204, v[180:183]
	ds_write_b128 v204, v[184:187] offset:16
	;; [unrolled: 2-line block ×5, first 2 shown]
	s_and_saveexec_b64 s[0:1], s[4:5]
	s_cbranch_execz .LBB0_17
; %bb.16:
	ds_write_b128 v201, v[148:151]
	ds_write_b128 v201, v[156:159] offset:16
.LBB0_17:
	s_or_b64 exec, exec, s[0:1]
	s_waitcnt lgkmcnt(0)
	s_barrier
	ds_read_b128 v[160:163], v196
	ds_read_b128 v[152:155], v196 offset:1760
	ds_read_b128 v[192:195], v196 offset:3872
	;; [unrolled: 1-line block ×9, first 2 shown]
	s_and_saveexec_b64 s[0:1], s[2:3]
	s_cbranch_execz .LBB0_19
; %bb.18:
	ds_read_b128 v[148:151], v196 offset:3520
	ds_read_b128 v[156:159], v196 offset:7392
	ds_read_b128 v[60:63], v196 offset:11264
	ds_read_b128 v[64:67], v196 offset:15136
	ds_read_b128 v[56:59], v196 offset:19008
.LBB0_19:
	s_or_b64 exec, exec, s[0:1]
	s_waitcnt lgkmcnt(7)
	v_mul_f64 v[204:205], v[46:47], v[194:195]
	v_fmac_f64_e32 v[204:205], v[44:45], v[192:193]
	v_mul_f64 v[192:193], v[46:47], v[192:193]
	v_fma_f64 v[192:193], v[44:45], v[194:195], -v[192:193]
	s_waitcnt lgkmcnt(5)
	v_mul_f64 v[194:195], v[54:55], v[190:191]
	v_fmac_f64_e32 v[194:195], v[52:53], v[188:189]
	v_mul_f64 v[188:189], v[54:55], v[188:189]
	v_fma_f64 v[188:189], v[52:53], v[190:191], -v[188:189]
	;; [unrolled: 5-line block ×3, first 2 shown]
	s_waitcnt lgkmcnt(1)
	v_mul_f64 v[186:187], v[42:43], v[182:183]
	s_waitcnt lgkmcnt(0)
	v_mul_f64 v[224:225], v[42:43], v[166:167]
	v_fmac_f64_e32 v[186:187], v[40:41], v[180:181]
	v_mul_f64 v[180:181], v[42:43], v[180:181]
	v_mul_f64 v[220:221], v[50:51], v[170:171]
	v_fmac_f64_e32 v[224:225], v[40:41], v[164:165]
	v_mul_f64 v[164:165], v[42:43], v[164:165]
	v_fma_f64 v[180:181], v[40:41], v[182:183], -v[180:181]
	v_mul_f64 v[212:213], v[46:47], v[178:179]
	v_mul_f64 v[216:217], v[54:55], v[174:175]
	v_fmac_f64_e32 v[220:221], v[48:49], v[168:169]
	v_mul_f64 v[168:169], v[50:51], v[168:169]
	v_fma_f64 v[226:227], v[40:41], v[166:167], -v[164:165]
	v_add_f64 v[166:167], v[194:195], v[190:191]
	s_mov_b32 s0, 0x134454ff
	v_fmac_f64_e32 v[212:213], v[44:45], v[176:177]
	v_mul_f64 v[176:177], v[46:47], v[176:177]
	v_fmac_f64_e32 v[216:217], v[52:53], v[172:173]
	v_mul_f64 v[172:173], v[54:55], v[172:173]
	v_fma_f64 v[222:223], v[48:49], v[170:171], -v[168:169]
	v_fma_f64 v[168:169], -0.5, v[166:167], v[160:161]
	v_add_f64 v[166:167], v[192:193], -v[180:181]
	s_mov_b32 s1, 0xbfee6f0e
	s_mov_b32 s6, 0x4755a5e
	;; [unrolled: 1-line block ×4, first 2 shown]
	v_fma_f64 v[214:215], v[44:45], v[178:179], -v[176:177]
	v_fma_f64 v[218:219], v[52:53], v[174:175], -v[172:173]
	v_fma_f64 v[172:173], s[0:1], v[166:167], v[168:169]
	v_add_f64 v[170:171], v[188:189], -v[184:185]
	s_mov_b32 s7, 0xbfe2cf23
	v_add_f64 v[174:175], v[204:205], -v[194:195]
	v_add_f64 v[176:177], v[186:187], -v[190:191]
	s_mov_b32 s14, 0x372fe950
	v_fmac_f64_e32 v[168:169], s[16:17], v[166:167]
	s_mov_b32 s19, 0x3fe2cf23
	s_mov_b32 s18, s6
	v_fmac_f64_e32 v[172:173], s[6:7], v[170:171]
	v_add_f64 v[174:175], v[174:175], v[176:177]
	s_mov_b32 s15, 0x3fd3c6ef
	v_fmac_f64_e32 v[168:169], s[18:19], v[170:171]
	v_fmac_f64_e32 v[172:173], s[14:15], v[174:175]
	;; [unrolled: 1-line block ×3, first 2 shown]
	v_add_f64 v[174:175], v[204:205], v[186:187]
	v_add_f64 v[164:165], v[160:161], v[204:205]
	v_fmac_f64_e32 v[160:161], -0.5, v[174:175]
	v_add_f64 v[164:165], v[164:165], v[194:195]
	v_fma_f64 v[176:177], s[16:17], v[170:171], v[160:161]
	v_add_f64 v[174:175], v[194:195], -v[204:205]
	v_add_f64 v[178:179], v[190:191], -v[186:187]
	v_fmac_f64_e32 v[160:161], s[0:1], v[170:171]
	v_add_f64 v[170:171], v[188:189], v[184:185]
	v_add_f64 v[164:165], v[164:165], v[190:191]
	v_fmac_f64_e32 v[176:177], s[6:7], v[166:167]
	v_add_f64 v[174:175], v[174:175], v[178:179]
	v_fmac_f64_e32 v[160:161], s[18:19], v[166:167]
	v_fma_f64 v[170:171], -0.5, v[170:171], v[162:163]
	v_add_f64 v[182:183], v[204:205], -v[186:187]
	v_add_f64 v[164:165], v[164:165], v[186:187]
	v_fmac_f64_e32 v[176:177], s[14:15], v[174:175]
	v_fmac_f64_e32 v[160:161], s[14:15], v[174:175]
	v_fma_f64 v[174:175], s[16:17], v[182:183], v[170:171]
	v_add_f64 v[186:187], v[194:195], -v[190:191]
	v_add_f64 v[178:179], v[192:193], -v[188:189]
	;; [unrolled: 1-line block ×3, first 2 shown]
	v_fmac_f64_e32 v[170:171], s[0:1], v[182:183]
	v_fmac_f64_e32 v[174:175], s[18:19], v[186:187]
	v_add_f64 v[178:179], v[178:179], v[190:191]
	v_fmac_f64_e32 v[170:171], s[6:7], v[186:187]
	v_fmac_f64_e32 v[174:175], s[14:15], v[178:179]
	;; [unrolled: 1-line block ×3, first 2 shown]
	v_add_f64 v[178:179], v[192:193], v[180:181]
	v_add_f64 v[166:167], v[162:163], v[192:193]
	v_fmac_f64_e32 v[162:163], -0.5, v[178:179]
	v_add_f64 v[166:167], v[166:167], v[188:189]
	v_fma_f64 v[178:179], s[0:1], v[186:187], v[162:163]
	v_fmac_f64_e32 v[162:163], s[16:17], v[186:187]
	v_add_f64 v[166:167], v[166:167], v[184:185]
	v_fmac_f64_e32 v[178:179], s[18:19], v[182:183]
	v_fmac_f64_e32 v[162:163], s[6:7], v[182:183]
	v_add_f64 v[182:183], v[216:217], v[220:221]
	v_add_f64 v[166:167], v[166:167], v[180:181]
	v_add_f64 v[188:189], v[188:189], -v[192:193]
	v_add_f64 v[180:181], v[184:185], -v[180:181]
	v_fma_f64 v[184:185], -0.5, v[182:183], v[152:153]
	v_add_f64 v[182:183], v[214:215], -v[226:227]
	v_add_f64 v[180:181], v[188:189], v[180:181]
	v_fma_f64 v[188:189], s[0:1], v[182:183], v[184:185]
	v_add_f64 v[186:187], v[218:219], -v[222:223]
	v_add_f64 v[190:191], v[212:213], -v[216:217]
	;; [unrolled: 1-line block ×3, first 2 shown]
	v_fmac_f64_e32 v[184:185], s[16:17], v[182:183]
	v_fmac_f64_e32 v[188:189], s[6:7], v[186:187]
	v_add_f64 v[190:191], v[190:191], v[192:193]
	v_fmac_f64_e32 v[184:185], s[18:19], v[186:187]
	v_fmac_f64_e32 v[188:189], s[14:15], v[190:191]
	;; [unrolled: 1-line block ×3, first 2 shown]
	v_add_f64 v[190:191], v[212:213], v[224:225]
	v_fmac_f64_e32 v[178:179], s[14:15], v[180:181]
	v_fmac_f64_e32 v[162:163], s[14:15], v[180:181]
	v_add_f64 v[180:181], v[152:153], v[212:213]
	v_fmac_f64_e32 v[152:153], -0.5, v[190:191]
	v_fma_f64 v[192:193], s[16:17], v[186:187], v[152:153]
	v_add_f64 v[190:191], v[216:217], -v[212:213]
	v_add_f64 v[194:195], v[220:221], -v[224:225]
	v_fmac_f64_e32 v[152:153], s[0:1], v[186:187]
	v_add_f64 v[186:187], v[218:219], v[222:223]
	v_fmac_f64_e32 v[192:193], s[6:7], v[182:183]
	v_add_f64 v[190:191], v[190:191], v[194:195]
	v_fmac_f64_e32 v[152:153], s[18:19], v[182:183]
	v_fma_f64 v[186:187], -0.5, v[186:187], v[154:155]
	v_add_f64 v[204:205], v[212:213], -v[224:225]
	v_add_f64 v[180:181], v[180:181], v[216:217]
	v_fmac_f64_e32 v[192:193], s[14:15], v[190:191]
	v_fmac_f64_e32 v[152:153], s[14:15], v[190:191]
	v_fma_f64 v[190:191], s[16:17], v[204:205], v[186:187]
	v_add_f64 v[212:213], v[216:217], -v[220:221]
	v_add_f64 v[194:195], v[214:215], -v[218:219]
	v_add_f64 v[216:217], v[226:227], -v[222:223]
	v_fmac_f64_e32 v[186:187], s[0:1], v[204:205]
	v_fmac_f64_e32 v[190:191], s[18:19], v[212:213]
	v_add_f64 v[194:195], v[194:195], v[216:217]
	v_fmac_f64_e32 v[186:187], s[6:7], v[212:213]
	v_fmac_f64_e32 v[190:191], s[14:15], v[194:195]
	;; [unrolled: 1-line block ×3, first 2 shown]
	v_add_f64 v[194:195], v[214:215], v[226:227]
	v_add_f64 v[182:183], v[154:155], v[214:215]
	v_fmac_f64_e32 v[154:155], -0.5, v[194:195]
	v_add_f64 v[182:183], v[182:183], v[218:219]
	v_fma_f64 v[194:195], s[0:1], v[212:213], v[154:155]
	v_add_f64 v[214:215], v[218:219], -v[214:215]
	v_add_f64 v[216:217], v[222:223], -v[226:227]
	v_fmac_f64_e32 v[154:155], s[16:17], v[212:213]
	v_add_f64 v[180:181], v[180:181], v[220:221]
	v_add_f64 v[182:183], v[182:183], v[222:223]
	v_fmac_f64_e32 v[194:195], s[18:19], v[204:205]
	v_add_f64 v[214:215], v[214:215], v[216:217]
	v_fmac_f64_e32 v[154:155], s[6:7], v[204:205]
	v_add_f64 v[180:181], v[180:181], v[224:225]
	v_add_f64 v[182:183], v[182:183], v[226:227]
	v_fmac_f64_e32 v[194:195], s[14:15], v[214:215]
	v_fmac_f64_e32 v[154:155], s[14:15], v[214:215]
	s_barrier
	ds_write_b128 v208, v[164:167]
	ds_write_b128 v208, v[172:175] offset:32
	ds_write_b128 v208, v[176:179] offset:64
	;; [unrolled: 1-line block ×4, first 2 shown]
	ds_write_b128 v209, v[180:183]
	ds_write_b128 v209, v[188:191] offset:32
	ds_write_b128 v209, v[192:195] offset:64
	;; [unrolled: 1-line block ×4, first 2 shown]
	s_and_saveexec_b64 s[20:21], s[2:3]
	s_cbranch_execz .LBB0_21
; %bb.20:
	v_mul_f64 v[162:163], v[50:51], v[64:65]
	v_mul_f64 v[152:153], v[54:55], v[60:61]
	;; [unrolled: 1-line block ×3, first 2 shown]
	v_fma_f64 v[162:163], v[48:49], v[66:67], -v[162:163]
	v_mul_f64 v[164:165], v[42:43], v[56:57]
	v_mul_f64 v[66:67], v[50:51], v[66:67]
	v_fma_f64 v[152:153], v[52:53], v[62:63], -v[152:153]
	v_fma_f64 v[154:155], v[44:45], v[158:159], -v[154:155]
	;; [unrolled: 1-line block ×3, first 2 shown]
	v_mul_f64 v[62:63], v[54:55], v[62:63]
	v_fmac_f64_e32 v[66:67], v[48:49], v[64:65]
	v_mul_f64 v[64:65], v[46:47], v[158:159]
	v_fmac_f64_e32 v[62:63], v[52:53], v[60:61]
	v_add_f64 v[48:49], v[154:155], v[164:165]
	v_fmac_f64_e32 v[64:65], v[44:45], v[156:157]
	v_mul_f64 v[44:45], v[42:43], v[58:59]
	v_add_f64 v[42:43], v[154:155], -v[152:153]
	v_add_f64 v[46:47], v[164:165], -v[162:163]
	v_add_f64 v[50:51], v[62:63], -v[66:67]
	v_fma_f64 v[48:49], -0.5, v[48:49], v[150:151]
	v_fmac_f64_e32 v[44:45], v[40:41], v[56:57]
	v_add_f64 v[46:47], v[42:43], v[46:47]
	v_add_f64 v[42:43], v[152:153], v[162:163]
	v_fma_f64 v[52:53], s[16:17], v[50:51], v[48:49]
	v_add_f64 v[40:41], v[64:65], -v[44:45]
	v_fmac_f64_e32 v[48:49], s[0:1], v[50:51]
	v_fma_f64 v[42:43], -0.5, v[42:43], v[150:151]
	v_fmac_f64_e32 v[52:53], s[6:7], v[40:41]
	v_fmac_f64_e32 v[48:49], s[18:19], v[40:41]
	v_fma_f64 v[56:57], s[0:1], v[40:41], v[42:43]
	v_fmac_f64_e32 v[42:43], s[16:17], v[40:41]
	v_add_f64 v[40:41], v[150:151], v[154:155]
	v_add_f64 v[40:41], v[40:41], v[152:153]
	v_fmac_f64_e32 v[56:57], s[6:7], v[50:51]
	v_fmac_f64_e32 v[42:43], s[18:19], v[50:51]
	v_add_f64 v[40:41], v[40:41], v[162:163]
	v_fmac_f64_e32 v[56:57], s[14:15], v[46:47]
	v_fmac_f64_e32 v[42:43], s[14:15], v[46:47]
	v_add_f64 v[60:61], v[40:41], v[164:165]
	v_add_f64 v[40:41], v[62:63], -v[64:65]
	v_add_f64 v[46:47], v[66:67], -v[44:45]
	v_add_f64 v[40:41], v[40:41], v[46:47]
	v_add_f64 v[46:47], v[64:65], v[44:45]
	v_fma_f64 v[46:47], -0.5, v[46:47], v[148:149]
	v_add_f64 v[150:151], v[152:153], -v[162:163]
	v_add_f64 v[58:59], v[154:155], -v[164:165]
	v_fma_f64 v[50:51], s[0:1], v[150:151], v[46:47]
	v_fmac_f64_e32 v[46:47], s[16:17], v[150:151]
	v_fmac_f64_e32 v[50:51], s[18:19], v[58:59]
	;; [unrolled: 1-line block ×5, first 2 shown]
	v_add_f64 v[40:41], v[64:65], -v[62:63]
	v_add_f64 v[54:55], v[44:45], -v[66:67]
	;; [unrolled: 1-line block ×3, first 2 shown]
	v_add_f64 v[152:153], v[40:41], v[54:55]
	v_add_f64 v[40:41], v[62:63], v[66:67]
	v_fma_f64 v[40:41], -0.5, v[40:41], v[148:149]
	v_fma_f64 v[54:55], s[16:17], v[58:59], v[40:41]
	v_fmac_f64_e32 v[40:41], s[0:1], v[58:59]
	v_add_f64 v[58:59], v[148:149], v[64:65]
	v_add_f64 v[58:59], v[58:59], v[62:63]
	;; [unrolled: 1-line block ×4, first 2 shown]
	v_mul_u32_u24_e32 v44, 10, v207
	v_add_f64 v[166:167], v[162:163], -v[164:165]
	v_or_b32_e32 v44, v44, v197
	v_add_f64 v[160:161], v[160:161], v[166:167]
	v_fmac_f64_e32 v[54:55], s[18:19], v[150:151]
	v_fmac_f64_e32 v[40:41], s[6:7], v[150:151]
	v_lshlrev_b32_e32 v44, 4, v44
	v_fmac_f64_e32 v[52:53], s[14:15], v[160:161]
	v_fmac_f64_e32 v[48:49], s[14:15], v[160:161]
	;; [unrolled: 1-line block ×4, first 2 shown]
	ds_write_b128 v44, v[58:61]
	ds_write_b128 v44, v[40:43] offset:32
	ds_write_b128 v44, v[46:49] offset:64
	;; [unrolled: 1-line block ×4, first 2 shown]
.LBB0_21:
	s_or_b64 exec, exec, s[20:21]
	s_waitcnt lgkmcnt(0)
	s_barrier
	ds_read_b128 v[44:47], v196
	ds_read_b128 v[40:43], v196 offset:1760
	ds_read_b128 v[54:57], v196 offset:3520
	;; [unrolled: 1-line block ×10, first 2 shown]
	s_waitcnt lgkmcnt(9)
	v_mul_f64 v[172:173], v[82:83], v[42:43]
	v_fmac_f64_e32 v[172:173], v[80:81], v[40:41]
	v_mul_f64 v[40:41], v[82:83], v[40:41]
	v_fma_f64 v[80:81], v[80:81], v[42:43], -v[40:41]
	s_waitcnt lgkmcnt(8)
	v_mul_f64 v[82:83], v[78:79], v[56:57]
	v_mul_f64 v[40:41], v[78:79], v[54:55]
	v_fmac_f64_e32 v[82:83], v[76:77], v[54:55]
	v_fma_f64 v[76:77], v[76:77], v[56:57], -v[40:41]
	s_waitcnt lgkmcnt(7)
	v_mul_f64 v[78:79], v[74:75], v[60:61]
	v_mul_f64 v[40:41], v[74:75], v[58:59]
	v_fmac_f64_e32 v[78:79], v[72:73], v[58:59]
	;; [unrolled: 5-line block ×3, first 2 shown]
	v_fma_f64 v[64:65], v[68:69], v[66:67], -v[40:41]
	s_waitcnt lgkmcnt(5)
	v_mul_f64 v[40:41], v[98:99], v[148:149]
	v_fma_f64 v[56:57], v[96:97], v[150:151], -v[40:41]
	s_waitcnt lgkmcnt(4)
	v_mul_f64 v[40:41], v[94:95], v[152:153]
	;; [unrolled: 3-line block ×5, first 2 shown]
	v_mul_f64 v[70:71], v[86:87], v[162:163]
	v_fma_f64 v[86:87], v[104:105], v[166:167], -v[40:41]
	s_waitcnt lgkmcnt(0)
	v_mul_f64 v[40:41], v[102:103], v[168:169]
	v_mul_f64 v[66:67], v[90:91], v[158:159]
	v_fma_f64 v[90:91], v[100:101], v[170:171], -v[40:41]
	v_add_f64 v[40:41], v[44:45], v[172:173]
	v_add_f64 v[42:43], v[46:47], v[80:81]
	;; [unrolled: 1-line block ×4, first 2 shown]
	v_mul_f64 v[54:55], v[98:99], v[150:151]
	v_add_f64 v[40:41], v[40:41], v[78:79]
	v_add_f64 v[42:43], v[42:43], v[72:73]
	v_fmac_f64_e32 v[54:55], v[96:97], v[148:149]
	v_mul_f64 v[58:59], v[94:95], v[154:155]
	v_add_f64 v[40:41], v[40:41], v[62:63]
	v_add_f64 v[42:43], v[42:43], v[64:65]
	v_fmac_f64_e32 v[58:59], v[92:93], v[152:153]
	v_add_f64 v[40:41], v[40:41], v[54:55]
	v_add_f64 v[42:43], v[42:43], v[56:57]
	v_fmac_f64_e32 v[66:67], v[88:89], v[156:157]
	v_add_f64 v[40:41], v[40:41], v[58:59]
	v_add_f64 v[42:43], v[42:43], v[60:61]
	v_mad_u64_u32 v[50:51], s[0:1], s10, v202, 0
	v_fmac_f64_e32 v[70:71], v[84:85], v[160:161]
	v_mul_f64 v[84:85], v[106:107], v[166:167]
	v_add_f64 v[40:41], v[40:41], v[66:67]
	v_add_f64 v[42:43], v[42:43], v[68:69]
	v_fmac_f64_e32 v[84:85], v[104:105], v[164:165]
	v_mul_f64 v[88:89], v[102:103], v[170:171]
	v_add_f64 v[40:41], v[40:41], v[70:71]
	v_add_f64 v[42:43], v[42:43], v[74:75]
	s_mov_b32 s16, 0xf8bb580b
	s_mov_b32 s18, 0x8764f0ba
	;; [unrolled: 1-line block ×10, first 2 shown]
	v_fmac_f64_e32 v[88:89], v[100:101], v[168:169]
	v_add_f64 v[40:41], v[40:41], v[84:85]
	v_add_f64 v[42:43], v[42:43], v[86:87]
	;; [unrolled: 1-line block ×3, first 2 shown]
	v_add_f64 v[80:81], v[80:81], -v[90:91]
	s_mov_b32 s17, 0xbfe14ced
	s_mov_b32 s19, 0x3feaeb8c
	;; [unrolled: 1-line block ×10, first 2 shown]
	v_mov_b32_e32 v48, s12
	v_mov_b32_e32 v49, s13
	v_add_f64 v[40:41], v[40:41], v[88:89]
	v_add_f64 v[42:43], v[42:43], v[90:91]
	;; [unrolled: 1-line block ×3, first 2 shown]
	v_add_f64 v[88:89], v[172:173], -v[88:89]
	v_mul_f64 v[90:91], v[80:81], s[16:17]
	v_mul_f64 v[98:99], v[94:95], s[18:19]
	s_mov_b32 s21, 0x3fe14ced
	s_mov_b32 s20, s16
	v_mul_f64 v[102:103], v[80:81], s[2:3]
	v_mul_f64 v[106:107], v[94:95], s[6:7]
	s_mov_b32 s13, 0x3fed1bb4
	s_mov_b32 s12, s2
	;; [unrolled: 4-line block ×5, first 2 shown]
	v_fma_f64 v[96:97], s[18:19], v[92:93], v[90:91]
	v_fma_f64 v[100:101], s[20:21], v[88:89], v[98:99]
	v_fma_f64 v[90:91], v[92:93], s[18:19], -v[90:91]
	v_fmac_f64_e32 v[98:99], s[16:17], v[88:89]
	v_fma_f64 v[104:105], s[6:7], v[92:93], v[102:103]
	v_fma_f64 v[148:149], s[12:13], v[88:89], v[106:107]
	v_fma_f64 v[102:103], v[92:93], s[6:7], -v[102:103]
	v_fmac_f64_e32 v[106:107], s[2:3], v[88:89]
	v_fma_f64 v[152:153], s[14:15], v[92:93], v[150:151]
	v_fma_f64 v[156:157], s[22:23], v[88:89], v[154:155]
	v_fma_f64 v[150:151], v[92:93], s[14:15], -v[150:151]
	v_fmac_f64_e32 v[154:155], s[0:1], v[88:89]
	v_fma_f64 v[160:161], s[26:27], v[92:93], v[158:159]
	v_fma_f64 v[164:165], s[28:29], v[88:89], v[162:163]
	v_fma_f64 v[158:159], v[92:93], s[26:27], -v[158:159]
	v_fmac_f64_e32 v[162:163], s[24:25], v[88:89]
	v_fma_f64 v[166:167], s[34:35], v[92:93], v[80:81]
	v_fma_f64 v[168:169], s[36:37], v[88:89], v[94:95]
	v_fma_f64 v[80:81], v[92:93], s[34:35], -v[80:81]
	v_fmac_f64_e32 v[94:95], s[30:31], v[88:89]
	v_add_f64 v[88:89], v[76:77], v[86:87]
	v_add_f64 v[76:77], v[76:77], -v[86:87]
	v_add_f64 v[96:97], v[44:45], v[96:97]
	v_add_f64 v[90:91], v[44:45], v[90:91]
	;; [unrolled: 1-line block ×11, first 2 shown]
	v_add_f64 v[82:83], v[82:83], -v[84:85]
	v_mul_f64 v[84:85], v[76:77], s[2:3]
	v_mul_f64 v[92:93], v[88:89], s[6:7]
	v_add_f64 v[100:101], v[46:47], v[100:101]
	v_add_f64 v[98:99], v[46:47], v[98:99]
	;; [unrolled: 1-line block ×10, first 2 shown]
	v_fma_f64 v[86:87], s[6:7], v[80:81], v[84:85]
	v_fma_f64 v[94:95], s[12:13], v[82:83], v[92:93]
	v_fma_f64 v[84:85], v[80:81], s[6:7], -v[84:85]
	v_fmac_f64_e32 v[92:93], s[2:3], v[82:83]
	v_add_f64 v[84:85], v[84:85], v[90:91]
	v_add_f64 v[90:91], v[92:93], v[98:99]
	v_mul_f64 v[92:93], v[76:77], s[24:25]
	v_add_f64 v[86:87], v[86:87], v[96:97]
	v_fma_f64 v[96:97], s[26:27], v[80:81], v[92:93]
	v_fma_f64 v[92:93], v[80:81], s[26:27], -v[92:93]
	v_add_f64 v[92:93], v[92:93], v[102:103]
	v_mul_f64 v[102:103], v[76:77], s[36:37]
	v_add_f64 v[96:97], v[96:97], v[104:105]
	v_fma_f64 v[104:105], s[34:35], v[80:81], v[102:103]
	v_fma_f64 v[102:103], v[80:81], s[34:35], -v[102:103]
	v_mul_f64 v[98:99], v[88:89], s[26:27]
	v_add_f64 v[102:103], v[102:103], v[150:151]
	v_mul_f64 v[150:151], v[76:77], s[22:23]
	v_add_f64 v[94:95], v[94:95], v[100:101]
	v_fma_f64 v[100:101], s[28:29], v[82:83], v[98:99]
	v_fmac_f64_e32 v[98:99], s[24:25], v[82:83]
	v_add_f64 v[104:105], v[104:105], v[152:153]
	v_fma_f64 v[152:153], s[14:15], v[80:81], v[150:151]
	v_fma_f64 v[150:151], v[80:81], s[14:15], -v[150:151]
	v_mul_f64 v[76:77], v[76:77], s[20:21]
	v_add_f64 v[98:99], v[98:99], v[106:107]
	v_mul_f64 v[106:107], v[88:89], s[34:35]
	v_add_f64 v[150:151], v[150:151], v[158:159]
	v_fma_f64 v[158:159], s[18:19], v[80:81], v[76:77]
	v_fma_f64 v[76:77], v[80:81], s[18:19], -v[76:77]
	v_add_f64 v[80:81], v[72:73], v[74:75]
	v_add_f64 v[72:73], v[72:73], -v[74:75]
	v_add_f64 v[100:101], v[100:101], v[148:149]
	v_fma_f64 v[148:149], s[30:31], v[82:83], v[106:107]
	v_fmac_f64_e32 v[106:107], s[36:37], v[82:83]
	v_add_f64 v[44:45], v[76:77], v[44:45]
	v_add_f64 v[76:77], v[78:79], v[70:71]
	v_mul_f64 v[74:75], v[72:73], s[0:1]
	v_add_f64 v[106:107], v[106:107], v[154:155]
	v_mul_f64 v[154:155], v[88:89], s[14:15]
	v_mul_f64 v[88:89], v[88:89], s[18:19]
	v_add_f64 v[70:71], v[78:79], -v[70:71]
	v_fma_f64 v[78:79], s[14:15], v[76:77], v[74:75]
	v_fma_f64 v[74:75], v[76:77], s[14:15], -v[74:75]
	v_add_f64 v[152:153], v[152:153], v[160:161]
	v_fma_f64 v[160:161], s[16:17], v[82:83], v[88:89]
	v_fmac_f64_e32 v[88:89], s[20:21], v[82:83]
	v_add_f64 v[74:75], v[74:75], v[84:85]
	v_mul_f64 v[84:85], v[72:73], s[36:37]
	v_add_f64 v[148:149], v[148:149], v[156:157]
	v_fma_f64 v[156:157], s[0:1], v[82:83], v[154:155]
	v_fmac_f64_e32 v[154:155], s[22:23], v[82:83]
	v_add_f64 v[46:47], v[88:89], v[46:47]
	v_mul_f64 v[82:83], v[80:81], s[14:15]
	v_fma_f64 v[88:89], s[34:35], v[76:77], v[84:85]
	v_fma_f64 v[84:85], v[76:77], s[34:35], -v[84:85]
	v_add_f64 v[78:79], v[78:79], v[86:87]
	v_fma_f64 v[86:87], s[22:23], v[70:71], v[82:83]
	v_fmac_f64_e32 v[82:83], s[0:1], v[70:71]
	v_add_f64 v[84:85], v[84:85], v[92:93]
	v_mul_f64 v[92:93], v[72:73], s[12:13]
	v_add_f64 v[82:83], v[82:83], v[90:91]
	v_add_f64 v[88:89], v[88:89], v[96:97]
	v_mul_f64 v[90:91], v[80:81], s[34:35]
	v_fma_f64 v[96:97], s[6:7], v[76:77], v[92:93]
	v_fma_f64 v[92:93], v[76:77], s[6:7], -v[92:93]
	v_add_f64 v[86:87], v[86:87], v[94:95]
	v_fma_f64 v[94:95], s[30:31], v[70:71], v[90:91]
	v_fmac_f64_e32 v[90:91], s[36:37], v[70:71]
	v_add_f64 v[92:93], v[92:93], v[102:103]
	v_mul_f64 v[102:103], v[72:73], s[16:17]
	v_add_f64 v[90:91], v[90:91], v[98:99]
	v_add_f64 v[96:97], v[96:97], v[104:105]
	v_mul_f64 v[98:99], v[80:81], s[6:7]
	v_fma_f64 v[104:105], s[18:19], v[76:77], v[102:103]
	v_fma_f64 v[102:103], v[76:77], s[18:19], -v[102:103]
	v_mul_f64 v[72:73], v[72:73], s[24:25]
	v_add_f64 v[94:95], v[94:95], v[100:101]
	v_fma_f64 v[100:101], s[2:3], v[70:71], v[98:99]
	v_fmac_f64_e32 v[98:99], s[12:13], v[70:71]
	v_add_f64 v[102:103], v[102:103], v[150:151]
	v_fma_f64 v[150:151], s[26:27], v[76:77], v[72:73]
	v_fma_f64 v[72:73], v[76:77], s[26:27], -v[72:73]
	v_add_f64 v[98:99], v[98:99], v[106:107]
	v_mul_f64 v[106:107], v[80:81], s[18:19]
	v_mul_f64 v[80:81], v[80:81], s[26:27]
	v_add_f64 v[44:45], v[72:73], v[44:45]
	v_add_f64 v[72:73], v[64:65], v[68:69]
	v_add_f64 v[64:65], v[64:65], -v[68:69]
	v_add_f64 v[100:101], v[100:101], v[148:149]
	v_add_f64 v[104:105], v[104:105], v[152:153]
	v_fma_f64 v[148:149], s[20:21], v[70:71], v[106:107]
	v_fmac_f64_e32 v[106:107], s[16:17], v[70:71]
	v_fma_f64 v[152:153], s[28:29], v[70:71], v[80:81]
	v_fmac_f64_e32 v[80:81], s[24:25], v[70:71]
	v_add_f64 v[70:71], v[62:63], v[66:67]
	v_add_f64 v[62:63], v[62:63], -v[66:67]
	v_mul_f64 v[66:67], v[64:65], s[24:25]
	v_fma_f64 v[68:69], s[26:27], v[70:71], v[66:67]
	v_mul_f64 v[76:77], v[72:73], s[26:27]
	v_add_f64 v[68:69], v[68:69], v[78:79]
	v_fma_f64 v[78:79], s[28:29], v[62:63], v[76:77]
	v_fma_f64 v[66:67], v[70:71], s[26:27], -v[66:67]
	v_fmac_f64_e32 v[76:77], s[24:25], v[62:63]
	v_add_f64 v[66:67], v[66:67], v[74:75]
	v_add_f64 v[74:75], v[76:77], v[82:83]
	v_mul_f64 v[76:77], v[64:65], s[22:23]
	v_add_f64 v[46:47], v[80:81], v[46:47]
	v_fma_f64 v[80:81], s[14:15], v[70:71], v[76:77]
	v_mul_f64 v[82:83], v[72:73], s[14:15]
	v_fma_f64 v[76:77], v[70:71], s[14:15], -v[76:77]
	v_add_f64 v[78:79], v[78:79], v[86:87]
	v_fma_f64 v[86:87], s[0:1], v[62:63], v[82:83]
	v_add_f64 v[76:77], v[76:77], v[84:85]
	v_fmac_f64_e32 v[82:83], s[22:23], v[62:63]
	v_mul_f64 v[84:85], v[64:65], s[16:17]
	v_add_f64 v[80:81], v[80:81], v[88:89]
	v_add_f64 v[82:83], v[82:83], v[90:91]
	v_fma_f64 v[88:89], s[18:19], v[70:71], v[84:85]
	v_mul_f64 v[90:91], v[72:73], s[18:19]
	v_fma_f64 v[84:85], v[70:71], s[18:19], -v[84:85]
	v_add_f64 v[86:87], v[86:87], v[94:95]
	v_fma_f64 v[94:95], s[20:21], v[62:63], v[90:91]
	v_add_f64 v[84:85], v[84:85], v[92:93]
	v_fmac_f64_e32 v[90:91], s[16:17], v[62:63]
	v_mul_f64 v[92:93], v[64:65], s[30:31]
	v_add_f64 v[156:157], v[156:157], v[164:165]
	v_add_f64 v[158:159], v[158:159], v[166:167]
	;; [unrolled: 1-line block ×5, first 2 shown]
	v_fma_f64 v[96:97], s[34:35], v[70:71], v[92:93]
	v_mul_f64 v[98:99], v[72:73], s[34:35]
	v_fma_f64 v[92:93], v[70:71], s[34:35], -v[92:93]
	v_mul_f64 v[64:65], v[64:65], s[12:13]
	v_mul_f64 v[72:73], v[72:73], s[6:7]
	v_add_f64 v[154:155], v[154:155], v[162:163]
	v_add_f64 v[148:149], v[148:149], v[156:157]
	;; [unrolled: 1-line block ×6, first 2 shown]
	v_fma_f64 v[102:103], s[6:7], v[70:71], v[64:65]
	v_fma_f64 v[104:105], s[2:3], v[62:63], v[72:73]
	v_add_f64 v[156:157], v[56:57], -v[60:61]
	v_add_f64 v[106:107], v[106:107], v[154:155]
	v_add_f64 v[94:95], v[94:95], v[100:101]
	v_fma_f64 v[100:101], s[36:37], v[62:63], v[98:99]
	v_fmac_f64_e32 v[98:99], s[30:31], v[62:63]
	v_add_f64 v[102:103], v[102:103], v[150:151]
	v_add_f64 v[104:105], v[104:105], v[152:153]
	v_fma_f64 v[64:65], v[70:71], s[6:7], -v[64:65]
	v_add_f64 v[150:151], v[54:55], v[58:59]
	v_add_f64 v[152:153], v[56:57], v[60:61]
	v_add_f64 v[154:155], v[54:55], -v[58:59]
	v_mul_f64 v[54:55], v[156:157], s[30:31]
	v_add_f64 v[98:99], v[98:99], v[106:107]
	v_add_f64 v[106:107], v[64:65], v[44:45]
	v_fmac_f64_e32 v[72:73], s[12:13], v[62:63]
	v_fma_f64 v[44:45], s[34:35], v[150:151], v[54:55]
	v_mul_f64 v[56:57], v[152:153], s[34:35]
	v_fma_f64 v[54:55], v[150:151], s[34:35], -v[54:55]
	v_mul_f64 v[62:63], v[156:157], s[20:21]
	v_mul_f64 v[64:65], v[152:153], s[18:19]
	;; [unrolled: 1-line block ×3, first 2 shown]
	v_add_f64 v[100:101], v[100:101], v[148:149]
	v_add_f64 v[148:149], v[72:73], v[46:47]
	v_fma_f64 v[46:47], s[36:37], v[154:155], v[56:57]
	v_add_f64 v[54:55], v[54:55], v[66:67]
	v_fma_f64 v[58:59], s[18:19], v[150:151], v[62:63]
	v_fma_f64 v[60:61], s[16:17], v[154:155], v[64:65]
	;; [unrolled: 1-line block ×3, first 2 shown]
	v_add_f64 v[46:47], v[46:47], v[78:79]
	v_fmac_f64_e32 v[56:57], s[30:31], v[154:155]
	v_add_f64 v[58:59], v[58:59], v[80:81]
	v_add_f64 v[60:61], v[60:61], v[86:87]
	v_fma_f64 v[62:63], v[150:151], s[18:19], -v[62:63]
	v_fmac_f64_e32 v[64:65], s[20:21], v[154:155]
	v_add_f64 v[66:67], v[66:67], v[88:89]
	v_mul_f64 v[72:73], v[152:153], s[26:27]
	v_fma_f64 v[70:71], v[150:151], s[26:27], -v[70:71]
	v_mul_f64 v[78:79], v[156:157], s[12:13]
	v_mul_f64 v[80:81], v[152:153], s[6:7]
	;; [unrolled: 1-line block ×4, first 2 shown]
	v_add_f64 v[44:45], v[44:45], v[68:69]
	v_add_f64 v[56:57], v[56:57], v[74:75]
	;; [unrolled: 1-line block ×4, first 2 shown]
	v_fma_f64 v[68:69], s[28:29], v[154:155], v[72:73]
	v_add_f64 v[70:71], v[70:71], v[84:85]
	v_fmac_f64_e32 v[72:73], s[24:25], v[154:155]
	v_fma_f64 v[74:75], s[6:7], v[150:151], v[78:79]
	v_fma_f64 v[76:77], s[2:3], v[154:155], v[80:81]
	v_fma_f64 v[78:79], v[150:151], s[6:7], -v[78:79]
	v_fmac_f64_e32 v[80:81], s[12:13], v[154:155]
	v_fma_f64 v[82:83], s[14:15], v[150:151], v[86:87]
	v_fma_f64 v[84:85], s[22:23], v[154:155], v[88:89]
	v_fma_f64 v[86:87], v[150:151], s[14:15], -v[86:87]
	v_fmac_f64_e32 v[88:89], s[0:1], v[154:155]
	v_add_f64 v[68:69], v[68:69], v[94:95]
	v_add_f64 v[72:73], v[72:73], v[90:91]
	;; [unrolled: 1-line block ×10, first 2 shown]
	s_barrier
	ds_write_b128 v210, v[40:43]
	ds_write_b128 v210, v[44:47] offset:160
	ds_write_b128 v210, v[58:61] offset:320
	;; [unrolled: 1-line block ×10, first 2 shown]
	s_waitcnt lgkmcnt(0)
	s_barrier
	ds_read_b128 v[58:61], v196
	ds_read_b128 v[40:43], v196 offset:1760
	ds_read_b128 v[44:47], v196 offset:3520
	ds_read_b128 v[54:57], v196 offset:5280
	ds_read_b128 v[62:65], v196 offset:7040
	ds_read_b128 v[66:69], v196 offset:8800
	ds_read_b128 v[70:73], v196 offset:10560
	ds_read_b128 v[74:77], v196 offset:12320
	ds_read_b128 v[78:81], v196 offset:14080
	ds_read_b128 v[82:85], v196 offset:15840
	ds_read_b128 v[86:89], v196 offset:17600
	s_waitcnt lgkmcnt(9)
	v_mul_f64 v[90:91], v[122:123], v[42:43]
	v_fmac_f64_e32 v[90:91], v[120:121], v[40:41]
	v_mul_f64 v[40:41], v[122:123], v[40:41]
	v_fma_f64 v[92:93], v[120:121], v[42:43], -v[40:41]
	s_waitcnt lgkmcnt(8)
	v_mul_f64 v[40:41], v[118:119], v[44:45]
	v_fma_f64 v[96:97], v[116:117], v[46:47], -v[40:41]
	s_waitcnt lgkmcnt(7)
	;; [unrolled: 3-line block ×3, first 2 shown]
	v_mul_f64 v[102:103], v[110:111], v[64:65]
	v_mul_f64 v[40:41], v[110:111], v[62:63]
	v_fmac_f64_e32 v[102:103], v[108:109], v[62:63]
	v_fma_f64 v[62:63], v[108:109], v[64:65], -v[40:41]
	s_waitcnt lgkmcnt(5)
	v_mul_f64 v[40:41], v[138:139], v[66:67]
	v_mul_f64 v[94:95], v[118:119], v[46:47]
	v_fma_f64 v[46:47], v[136:137], v[68:69], -v[40:41]
	s_waitcnt lgkmcnt(4)
	v_mul_f64 v[40:41], v[134:135], v[70:71]
	v_fmac_f64_e32 v[94:95], v[116:117], v[44:45]
	v_mul_f64 v[98:99], v[114:115], v[56:57]
	v_mul_f64 v[44:45], v[138:139], v[68:69]
	v_fma_f64 v[56:57], v[132:133], v[72:73], -v[40:41]
	s_waitcnt lgkmcnt(3)
	v_mul_f64 v[40:41], v[130:131], v[74:75]
	v_fmac_f64_e32 v[98:99], v[112:113], v[54:55]
	v_fmac_f64_e32 v[44:45], v[136:137], v[66:67]
	v_mul_f64 v[54:55], v[134:135], v[72:73]
	v_fma_f64 v[66:67], v[128:129], v[76:77], -v[40:41]
	s_waitcnt lgkmcnt(2)
	v_mul_f64 v[40:41], v[126:127], v[78:79]
	v_add_f64 v[42:43], v[60:61], v[92:93]
	v_fmac_f64_e32 v[54:55], v[132:133], v[70:71]
	v_mul_f64 v[64:65], v[130:131], v[76:77]
	v_fma_f64 v[70:71], v[124:125], v[80:81], -v[40:41]
	s_waitcnt lgkmcnt(1)
	v_mul_f64 v[40:41], v[146:147], v[82:83]
	v_add_f64 v[42:43], v[42:43], v[96:97]
	;; [unrolled: 6-line block ×3, first 2 shown]
	v_fmac_f64_e32 v[68:69], v[124:125], v[78:79]
	v_fma_f64 v[78:79], v[140:141], v[88:89], -v[40:41]
	v_add_f64 v[40:41], v[58:59], v[90:91]
	v_add_f64 v[42:43], v[42:43], v[62:63]
	;; [unrolled: 1-line block ×10, first 2 shown]
	v_mul_f64 v[72:73], v[146:147], v[84:85]
	v_mul_f64 v[76:77], v[142:143], v[88:89]
	v_add_f64 v[40:41], v[40:41], v[54:55]
	v_add_f64 v[42:43], v[42:43], v[74:75]
	v_fmac_f64_e32 v[72:73], v[144:145], v[82:83]
	v_fmac_f64_e32 v[76:77], v[140:141], v[86:87]
	v_add_f64 v[40:41], v[40:41], v[64:65]
	v_add_f64 v[42:43], v[42:43], v[78:79]
	v_add_f64 v[82:83], v[92:93], v[78:79]
	v_add_f64 v[78:79], v[92:93], -v[78:79]
	v_add_f64 v[40:41], v[40:41], v[68:69]
	v_add_f64 v[80:81], v[90:91], v[76:77]
	v_mul_f64 v[84:85], v[78:79], s[16:17]
	v_mul_f64 v[92:93], v[78:79], s[2:3]
	;; [unrolled: 1-line block ×5, first 2 shown]
	v_add_f64 v[40:41], v[40:41], v[72:73]
	v_fma_f64 v[86:87], s[18:19], v[80:81], v[84:85]
	v_fma_f64 v[84:85], v[80:81], s[18:19], -v[84:85]
	v_fma_f64 v[104:105], s[6:7], v[80:81], v[92:93]
	v_fma_f64 v[92:93], v[80:81], s[6:7], -v[92:93]
	;; [unrolled: 2-line block ×5, first 2 shown]
	v_add_f64 v[40:41], v[40:41], v[76:77]
	v_add_f64 v[76:77], v[90:91], -v[76:77]
	v_add_f64 v[86:87], v[58:59], v[86:87]
	v_mul_f64 v[88:89], v[82:83], s[18:19]
	v_add_f64 v[84:85], v[58:59], v[84:85]
	v_add_f64 v[104:105], v[58:59], v[104:105]
	v_mul_f64 v[106:107], v[82:83], s[6:7]
	v_add_f64 v[92:93], v[58:59], v[92:93]
	;; [unrolled: 3-line block ×5, first 2 shown]
	v_add_f64 v[78:79], v[96:97], v[74:75]
	v_add_f64 v[74:75], v[96:97], -v[74:75]
	v_fma_f64 v[90:91], s[20:21], v[76:77], v[88:89]
	v_fmac_f64_e32 v[88:89], s[16:17], v[76:77]
	v_fma_f64 v[108:109], s[12:13], v[76:77], v[106:107]
	v_fmac_f64_e32 v[106:107], s[2:3], v[76:77]
	;; [unrolled: 2-line block ×5, first 2 shown]
	v_add_f64 v[76:77], v[94:95], v[72:73]
	v_mul_f64 v[80:81], v[74:75], s[2:3]
	v_add_f64 v[90:91], v[60:61], v[90:91]
	v_add_f64 v[88:89], v[60:61], v[88:89]
	;; [unrolled: 1-line block ×10, first 2 shown]
	v_fma_f64 v[82:83], s[6:7], v[76:77], v[80:81]
	v_add_f64 v[72:73], v[94:95], -v[72:73]
	v_add_f64 v[82:83], v[82:83], v[86:87]
	v_mul_f64 v[86:87], v[78:79], s[6:7]
	v_fma_f64 v[94:95], s[12:13], v[72:73], v[86:87]
	v_fma_f64 v[80:81], v[76:77], s[6:7], -v[80:81]
	v_fmac_f64_e32 v[86:87], s[2:3], v[72:73]
	v_add_f64 v[90:91], v[94:95], v[90:91]
	v_add_f64 v[80:81], v[80:81], v[84:85]
	;; [unrolled: 1-line block ×3, first 2 shown]
	v_mul_f64 v[86:87], v[74:75], s[24:25]
	v_mul_f64 v[94:95], v[78:79], s[26:27]
	v_fma_f64 v[88:89], s[26:27], v[76:77], v[86:87]
	v_fma_f64 v[96:97], s[28:29], v[72:73], v[94:95]
	v_fma_f64 v[86:87], v[76:77], s[26:27], -v[86:87]
	v_fmac_f64_e32 v[94:95], s[24:25], v[72:73]
	v_add_f64 v[86:87], v[86:87], v[92:93]
	v_add_f64 v[92:93], v[94:95], v[106:107]
	v_mul_f64 v[94:95], v[74:75], s[36:37]
	v_add_f64 v[88:89], v[88:89], v[104:105]
	v_fma_f64 v[104:105], s[34:35], v[76:77], v[94:95]
	v_fma_f64 v[94:95], v[76:77], s[34:35], -v[94:95]
	v_add_f64 v[94:95], v[94:95], v[110:111]
	v_mul_f64 v[110:111], v[74:75], s[22:23]
	v_add_f64 v[104:105], v[104:105], v[112:113]
	v_mul_f64 v[106:107], v[78:79], s[34:35]
	v_fma_f64 v[112:113], s[14:15], v[76:77], v[110:111]
	v_fma_f64 v[110:111], v[76:77], s[14:15], -v[110:111]
	v_mul_f64 v[74:75], v[74:75], s[20:21]
	v_add_f64 v[96:97], v[96:97], v[108:109]
	v_fma_f64 v[108:109], s[30:31], v[72:73], v[106:107]
	v_fmac_f64_e32 v[106:107], s[36:37], v[72:73]
	v_add_f64 v[110:111], v[110:111], v[118:119]
	v_fma_f64 v[118:119], s[18:19], v[76:77], v[74:75]
	v_fma_f64 v[74:75], v[76:77], s[18:19], -v[74:75]
	v_add_f64 v[106:107], v[106:107], v[114:115]
	v_mul_f64 v[114:115], v[78:79], s[14:15]
	v_mul_f64 v[78:79], v[78:79], s[18:19]
	v_add_f64 v[58:59], v[74:75], v[58:59]
	v_add_f64 v[74:75], v[100:101], v[70:71]
	v_add_f64 v[70:71], v[100:101], -v[70:71]
	v_add_f64 v[108:109], v[108:109], v[116:117]
	v_add_f64 v[112:113], v[112:113], v[120:121]
	v_fma_f64 v[116:117], s[0:1], v[72:73], v[114:115]
	v_fmac_f64_e32 v[114:115], s[22:23], v[72:73]
	v_fma_f64 v[120:121], s[16:17], v[72:73], v[78:79]
	v_fmac_f64_e32 v[78:79], s[20:21], v[72:73]
	v_add_f64 v[72:73], v[98:99], v[68:69]
	v_mul_f64 v[76:77], v[70:71], s[0:1]
	v_add_f64 v[60:61], v[78:79], v[60:61]
	v_fma_f64 v[78:79], s[14:15], v[72:73], v[76:77]
	v_add_f64 v[68:69], v[98:99], -v[68:69]
	v_add_f64 v[78:79], v[78:79], v[82:83]
	v_mul_f64 v[82:83], v[74:75], s[14:15]
	v_fma_f64 v[98:99], s[22:23], v[68:69], v[82:83]
	v_fma_f64 v[76:77], v[72:73], s[14:15], -v[76:77]
	v_fmac_f64_e32 v[82:83], s[0:1], v[68:69]
	v_add_f64 v[76:77], v[76:77], v[80:81]
	v_add_f64 v[80:81], v[82:83], v[84:85]
	v_mul_f64 v[82:83], v[70:71], s[36:37]
	v_fma_f64 v[84:85], s[34:35], v[72:73], v[82:83]
	v_add_f64 v[84:85], v[84:85], v[88:89]
	v_mul_f64 v[88:89], v[74:75], s[34:35]
	v_add_f64 v[90:91], v[98:99], v[90:91]
	v_fma_f64 v[98:99], s[30:31], v[68:69], v[88:89]
	v_fma_f64 v[82:83], v[72:73], s[34:35], -v[82:83]
	v_fmac_f64_e32 v[88:89], s[36:37], v[68:69]
	v_add_f64 v[96:97], v[98:99], v[96:97]
	v_add_f64 v[82:83], v[82:83], v[86:87]
	;; [unrolled: 1-line block ×3, first 2 shown]
	v_mul_f64 v[88:89], v[70:71], s[12:13]
	v_mul_f64 v[98:99], v[74:75], s[6:7]
	v_fma_f64 v[92:93], s[6:7], v[72:73], v[88:89]
	v_fma_f64 v[100:101], s[2:3], v[68:69], v[98:99]
	v_fma_f64 v[88:89], v[72:73], s[6:7], -v[88:89]
	v_fmac_f64_e32 v[98:99], s[12:13], v[68:69]
	v_add_f64 v[88:89], v[88:89], v[94:95]
	v_add_f64 v[94:95], v[98:99], v[106:107]
	v_mul_f64 v[98:99], v[70:71], s[16:17]
	v_add_f64 v[92:93], v[92:93], v[104:105]
	v_fma_f64 v[104:105], s[18:19], v[72:73], v[98:99]
	v_fma_f64 v[98:99], v[72:73], s[18:19], -v[98:99]
	v_mul_f64 v[70:71], v[70:71], s[24:25]
	v_add_f64 v[98:99], v[98:99], v[110:111]
	v_fma_f64 v[110:111], s[26:27], v[72:73], v[70:71]
	v_fma_f64 v[70:71], v[72:73], s[26:27], -v[70:71]
	v_mul_f64 v[106:107], v[74:75], s[18:19]
	v_mul_f64 v[74:75], v[74:75], s[26:27]
	v_add_f64 v[58:59], v[70:71], v[58:59]
	v_add_f64 v[70:71], v[62:63], v[66:67]
	v_add_f64 v[62:63], v[62:63], -v[66:67]
	v_add_f64 v[100:101], v[100:101], v[108:109]
	v_add_f64 v[104:105], v[104:105], v[112:113]
	v_fma_f64 v[108:109], s[20:21], v[68:69], v[106:107]
	v_fmac_f64_e32 v[106:107], s[16:17], v[68:69]
	v_fma_f64 v[112:113], s[28:29], v[68:69], v[74:75]
	v_fmac_f64_e32 v[74:75], s[24:25], v[68:69]
	v_add_f64 v[68:69], v[102:103], v[64:65]
	v_mul_f64 v[66:67], v[62:63], s[24:25]
	v_add_f64 v[60:61], v[74:75], v[60:61]
	v_add_f64 v[64:65], v[102:103], -v[64:65]
	v_fma_f64 v[72:73], s[26:27], v[68:69], v[66:67]
	v_mul_f64 v[74:75], v[70:71], s[26:27]
	v_fma_f64 v[66:67], v[68:69], s[26:27], -v[66:67]
	v_add_f64 v[72:73], v[72:73], v[78:79]
	v_fma_f64 v[78:79], s[28:29], v[64:65], v[74:75]
	v_add_f64 v[66:67], v[66:67], v[76:77]
	v_fmac_f64_e32 v[74:75], s[24:25], v[64:65]
	v_mul_f64 v[76:77], v[62:63], s[22:23]
	v_add_f64 v[74:75], v[74:75], v[80:81]
	v_fma_f64 v[80:81], s[14:15], v[68:69], v[76:77]
	v_add_f64 v[80:81], v[80:81], v[84:85]
	v_mul_f64 v[84:85], v[70:71], s[14:15]
	v_add_f64 v[78:79], v[78:79], v[90:91]
	v_fma_f64 v[90:91], s[0:1], v[64:65], v[84:85]
	v_fma_f64 v[76:77], v[68:69], s[14:15], -v[76:77]
	v_fmac_f64_e32 v[84:85], s[22:23], v[64:65]
	v_add_f64 v[76:77], v[76:77], v[82:83]
	v_add_f64 v[82:83], v[84:85], v[86:87]
	v_mul_f64 v[84:85], v[62:63], s[16:17]
	v_fma_f64 v[86:87], s[18:19], v[68:69], v[84:85]
	v_add_f64 v[86:87], v[86:87], v[92:93]
	v_mul_f64 v[92:93], v[70:71], s[18:19]
	v_add_f64 v[90:91], v[90:91], v[96:97]
	v_fma_f64 v[96:97], s[20:21], v[64:65], v[92:93]
	v_fma_f64 v[84:85], v[68:69], s[18:19], -v[84:85]
	v_fmac_f64_e32 v[92:93], s[16:17], v[64:65]
	v_add_f64 v[114:115], v[114:115], v[122:123]
	v_add_f64 v[96:97], v[96:97], v[100:101]
	;; [unrolled: 1-line block ×4, first 2 shown]
	v_mul_f64 v[92:93], v[62:63], s[30:31]
	v_mul_f64 v[100:101], v[70:71], s[34:35]
	v_add_f64 v[116:117], v[116:117], v[124:125]
	v_add_f64 v[118:119], v[118:119], v[126:127]
	;; [unrolled: 1-line block ×3, first 2 shown]
	v_fma_f64 v[94:95], s[34:35], v[68:69], v[92:93]
	v_fma_f64 v[102:103], s[36:37], v[64:65], v[100:101]
	v_fma_f64 v[92:93], v[68:69], s[34:35], -v[92:93]
	v_fmac_f64_e32 v[100:101], s[30:31], v[64:65]
	v_mul_f64 v[62:63], v[62:63], s[12:13]
	v_add_f64 v[120:121], v[120:121], v[128:129]
	v_add_f64 v[108:109], v[108:109], v[116:117]
	;; [unrolled: 1-line block ×5, first 2 shown]
	v_fma_f64 v[100:101], s[6:7], v[68:69], v[62:63]
	v_mul_f64 v[70:71], v[70:71], s[6:7]
	v_add_f64 v[116:117], v[46:47], -v[56:57]
	v_add_f64 v[112:113], v[112:113], v[120:121]
	v_add_f64 v[94:95], v[94:95], v[104:105]
	;; [unrolled: 1-line block ×3, first 2 shown]
	v_fma_f64 v[104:105], s[2:3], v[64:65], v[70:71]
	v_add_f64 v[110:111], v[44:45], v[54:55]
	v_add_f64 v[114:115], v[44:45], -v[54:55]
	v_mul_f64 v[54:55], v[116:117], s[30:31]
	v_add_f64 v[104:105], v[104:105], v[112:113]
	v_fma_f64 v[62:63], v[68:69], s[6:7], -v[62:63]
	v_fmac_f64_e32 v[70:71], s[12:13], v[64:65]
	v_add_f64 v[112:113], v[46:47], v[56:57]
	v_fma_f64 v[44:45], s[34:35], v[110:111], v[54:55]
	v_add_f64 v[102:103], v[102:103], v[108:109]
	v_add_f64 v[106:107], v[62:63], v[58:59]
	;; [unrolled: 1-line block ×4, first 2 shown]
	v_mul_f64 v[56:57], v[112:113], s[34:35]
	v_fma_f64 v[54:55], v[110:111], s[34:35], -v[54:55]
	v_mul_f64 v[62:63], v[116:117], s[20:21]
	v_mul_f64 v[70:71], v[116:117], s[24:25]
	v_mul_f64 v[72:73], v[112:113], s[26:27]
	v_fma_f64 v[46:47], s[36:37], v[114:115], v[56:57]
	v_add_f64 v[54:55], v[54:55], v[66:67]
	v_fma_f64 v[58:59], s[18:19], v[110:111], v[62:63]
	v_mul_f64 v[64:65], v[112:113], s[18:19]
	v_fma_f64 v[66:67], s[26:27], v[110:111], v[70:71]
	v_fma_f64 v[68:69], s[28:29], v[114:115], v[72:73]
	v_fmac_f64_e32 v[72:73], s[24:25], v[114:115]
	v_add_f64 v[46:47], v[46:47], v[78:79]
	v_fmac_f64_e32 v[56:57], s[30:31], v[114:115]
	v_add_f64 v[58:59], v[58:59], v[80:81]
	v_fma_f64 v[60:61], s[16:17], v[114:115], v[64:65]
	v_fma_f64 v[62:63], v[110:111], s[18:19], -v[62:63]
	v_fmac_f64_e32 v[64:65], s[20:21], v[114:115]
	v_add_f64 v[66:67], v[66:67], v[86:87]
	v_fma_f64 v[70:71], v[110:111], s[26:27], -v[70:71]
	v_add_f64 v[72:73], v[72:73], v[88:89]
	v_mul_f64 v[78:79], v[116:117], s[12:13]
	v_mul_f64 v[80:81], v[112:113], s[6:7]
	;; [unrolled: 1-line block ×4, first 2 shown]
	v_add_f64 v[56:57], v[56:57], v[74:75]
	v_add_f64 v[62:63], v[62:63], v[76:77]
	;; [unrolled: 1-line block ×4, first 2 shown]
	v_fma_f64 v[74:75], s[6:7], v[110:111], v[78:79]
	v_fma_f64 v[76:77], s[2:3], v[114:115], v[80:81]
	v_fma_f64 v[78:79], v[110:111], s[6:7], -v[78:79]
	v_fmac_f64_e32 v[80:81], s[12:13], v[114:115]
	v_fma_f64 v[82:83], s[14:15], v[110:111], v[86:87]
	v_fma_f64 v[84:85], s[22:23], v[114:115], v[88:89]
	v_fma_f64 v[86:87], v[110:111], s[14:15], -v[86:87]
	v_fmac_f64_e32 v[88:89], s[0:1], v[114:115]
	v_add_f64 v[60:61], v[60:61], v[90:91]
	v_add_f64 v[68:69], v[68:69], v[96:97]
	;; [unrolled: 1-line block ×10, first 2 shown]
	ds_write_b128 v196, v[40:43]
	ds_write_b128 v196, v[44:47] offset:1760
	ds_write_b128 v196, v[58:61] offset:3520
	;; [unrolled: 1-line block ×10, first 2 shown]
	s_waitcnt lgkmcnt(0)
	s_barrier
	ds_read_b128 v[40:43], v196
	v_mov_b32_e32 v52, v51
	v_mad_u64_u32 v[44:45], s[0:1], s11, v202, v[52:53]
	v_mov_b32_e32 v51, v44
	ds_read_b128 v[44:47], v196 offset:1760
	s_waitcnt lgkmcnt(1)
	v_mul_f64 v[52:53], v[26:27], v[42:43]
	s_mov_b32 s0, 0xdfd760e6
	v_mul_f64 v[26:27], v[26:27], v[40:41]
	v_fmac_f64_e32 v[52:53], v[24:25], v[40:41]
	s_mov_b32 s1, 0x3f4b14bb
	v_fma_f64 v[24:25], v[24:25], v[42:43], -v[26:27]
	v_mad_u64_u32 v[40:41], s[2:3], s8, v200, 0
	v_mul_f64 v[54:55], v[24:25], s[0:1]
	v_mov_b32_e32 v24, v41
	v_mad_u64_u32 v[24:25], s[2:3], s9, v200, v[24:25]
	v_mov_b32_e32 v41, v24
	ds_read_b128 v[24:27], v196 offset:9680
	v_lshl_add_u64 v[42:43], v[50:51], 4, v[48:49]
	v_lshl_add_u64 v[56:57], v[40:41], 4, v[42:43]
	ds_read_b128 v[40:43], v196 offset:7040
	s_mul_i32 s2, s9, 0x25d
	s_waitcnt lgkmcnt(1)
	v_mul_f64 v[48:49], v[2:3], v[26:27]
	v_mul_f64 v[2:3], v[2:3], v[24:25]
	v_fmac_f64_e32 v[48:49], v[0:1], v[24:25]
	v_fma_f64 v[0:1], v[0:1], v[26:27], -v[2:3]
	v_mul_f64 v[50:51], v[0:1], s[0:1]
	v_mul_f64 v[0:1], v[6:7], v[46:47]
	;; [unrolled: 1-line block ×3, first 2 shown]
	s_mul_hi_u32 s3, s8, 0x25d
	v_fmac_f64_e32 v[0:1], v[4:5], v[44:45]
	v_fma_f64 v[2:3], v[4:5], v[46:47], -v[2:3]
	s_mul_hi_u32 s7, s8, 0xfffffe11
	ds_read_b128 v[4:7], v196 offset:11440
	s_add_i32 s3, s3, s2
	s_mul_i32 s2, s8, 0x25d
	s_mul_i32 s6, s9, 0xfffffe11
	s_sub_i32 s7, s7, s8
	s_lshl_b64 s[10:11], s[2:3], 4
	s_add_i32 s7, s7, s6
	s_mul_i32 s6, s8, 0xfffffe11
	v_lshl_add_u64 v[24:25], v[56:57], 0, s[10:11]
	s_lshl_b64 s[8:9], s[6:7], 4
	v_mul_f64 v[52:53], v[52:53], s[0:1]
	v_mul_f64 v[48:49], v[48:49], s[0:1]
	;; [unrolled: 1-line block ×4, first 2 shown]
	v_lshl_add_u64 v[44:45], v[24:25], 0, s[8:9]
	global_store_dwordx4 v[56:57], v[52:55], off
	global_store_dwordx4 v[24:25], v[48:51], off
	;; [unrolled: 1-line block ×3, first 2 shown]
	ds_read_b128 v[0:3], v196 offset:13200
	s_waitcnt lgkmcnt(1)
	v_mul_f64 v[24:25], v[10:11], v[6:7]
	v_fmac_f64_e32 v[24:25], v[8:9], v[4:5]
	v_mul_f64 v[4:5], v[10:11], v[4:5]
	v_fma_f64 v[8:9], v[8:9], v[6:7], -v[4:5]
	ds_read_b128 v[4:7], v196 offset:3520
	v_mul_f64 v[24:25], v[24:25], s[0:1]
	v_mul_f64 v[26:27], v[8:9], s[0:1]
	ds_read_b128 v[8:11], v196 offset:5280
	v_lshl_add_u64 v[44:45], v[44:45], 0, s[10:11]
	global_store_dwordx4 v[44:45], v[24:27], off
	s_waitcnt lgkmcnt(1)
	s_nop 0
	v_mul_f64 v[24:25], v[14:15], v[6:7]
	v_fmac_f64_e32 v[24:25], v[12:13], v[4:5]
	v_mul_f64 v[4:5], v[14:15], v[4:5]
	v_fma_f64 v[4:5], v[12:13], v[6:7], -v[4:5]
	v_mul_f64 v[26:27], v[4:5], s[0:1]
	v_mul_f64 v[4:5], v[18:19], v[2:3]
	v_fmac_f64_e32 v[4:5], v[16:17], v[0:1]
	v_mul_f64 v[0:1], v[18:19], v[0:1]
	v_mul_f64 v[24:25], v[24:25], s[0:1]
	v_lshl_add_u64 v[12:13], v[44:45], 0, s[8:9]
	v_fma_f64 v[0:1], v[16:17], v[2:3], -v[0:1]
	global_store_dwordx4 v[12:13], v[24:27], off
	v_mul_f64 v[4:5], v[4:5], s[0:1]
	v_mul_f64 v[6:7], v[0:1], s[0:1]
	v_lshl_add_u64 v[12:13], v[12:13], 0, s[10:11]
	global_store_dwordx4 v[12:13], v[4:7], off
	ds_read_b128 v[4:7], v196 offset:14960
	s_waitcnt lgkmcnt(1)
	v_mul_f64 v[0:1], v[30:31], v[10:11]
	v_mul_f64 v[2:3], v[30:31], v[8:9]
	v_fmac_f64_e32 v[0:1], v[28:29], v[8:9]
	v_fma_f64 v[2:3], v[28:29], v[10:11], -v[2:3]
	v_mul_f64 v[0:1], v[0:1], s[0:1]
	v_mul_f64 v[2:3], v[2:3], s[0:1]
	v_lshl_add_u64 v[12:13], v[12:13], 0, s[8:9]
	global_store_dwordx4 v[12:13], v[0:3], off
	ds_read_b128 v[0:3], v196 offset:16720
	s_waitcnt lgkmcnt(1)
	v_mul_f64 v[8:9], v[22:23], v[6:7]
	v_fmac_f64_e32 v[8:9], v[20:21], v[4:5]
	v_mul_f64 v[4:5], v[22:23], v[4:5]
	v_fma_f64 v[4:5], v[20:21], v[6:7], -v[4:5]
	v_mul_f64 v[10:11], v[4:5], s[0:1]
	v_mul_f64 v[4:5], v[34:35], v[42:43]
	;; [unrolled: 1-line block ×4, first 2 shown]
	v_lshl_add_u64 v[12:13], v[12:13], 0, s[10:11]
	v_fmac_f64_e32 v[4:5], v[32:33], v[40:41]
	v_fma_f64 v[6:7], v[32:33], v[42:43], -v[6:7]
	global_store_dwordx4 v[12:13], v[8:11], off
	v_mul_f64 v[4:5], v[4:5], s[0:1]
	v_mul_f64 v[6:7], v[6:7], s[0:1]
	v_lshl_add_u64 v[8:9], v[12:13], 0, s[8:9]
	global_store_dwordx4 v[8:9], v[4:7], off
	s_waitcnt lgkmcnt(0)
	s_nop 0
	v_mul_f64 v[4:5], v[38:39], v[2:3]
	v_fmac_f64_e32 v[4:5], v[36:37], v[0:1]
	v_mul_f64 v[0:1], v[38:39], v[0:1]
	v_fma_f64 v[0:1], v[36:37], v[2:3], -v[0:1]
	v_mul_f64 v[4:5], v[4:5], s[0:1]
	v_mul_f64 v[6:7], v[0:1], s[0:1]
	v_lshl_add_u64 v[0:1], v[8:9], 0, s[10:11]
	global_store_dwordx4 v[0:1], v[4:7], off
	s_and_b64 exec, exec, s[4:5]
	s_cbranch_execz .LBB0_23
; %bb.22:
	v_add_co_u32_e32 v2, vcc, 0x2000, v198
	s_movk_i32 s4, 0x4000
	s_nop 0
	v_addc_co_u32_e32 v3, vcc, 0, v199, vcc
	v_add_co_u32_e32 v6, vcc, s4, v198
	global_load_dwordx4 v[2:5], v[2:3], off offset:608
	s_nop 0
	v_addc_co_u32_e32 v7, vcc, 0, v199, vcc
	global_load_dwordx4 v[6:9], v[6:7], off offset:2096
	ds_read_b128 v[10:13], v196 offset:8800
	ds_read_b128 v[14:17], v196 offset:18480
	v_lshl_add_u64 v[18:19], s[6:7], 4, v[0:1]
	v_lshl_add_u64 v[20:21], s[2:3], 4, v[18:19]
	s_waitcnt vmcnt(1) lgkmcnt(1)
	v_mul_f64 v[0:1], v[12:13], v[4:5]
	v_mul_f64 v[4:5], v[10:11], v[4:5]
	v_fmac_f64_e32 v[0:1], v[10:11], v[2:3]
	s_waitcnt vmcnt(0) lgkmcnt(0)
	v_mul_f64 v[22:23], v[16:17], v[8:9]
	v_mul_f64 v[8:9], v[14:15], v[8:9]
	v_fma_f64 v[2:3], v[2:3], v[12:13], -v[4:5]
	v_fmac_f64_e32 v[22:23], v[14:15], v[6:7]
	v_fma_f64 v[6:7], v[6:7], v[16:17], -v[8:9]
	v_mul_f64 v[0:1], v[0:1], s[0:1]
	v_mul_f64 v[2:3], v[2:3], s[0:1]
	;; [unrolled: 1-line block ×4, first 2 shown]
	global_store_dwordx4 v[18:19], v[0:3], off
	global_store_dwordx4 v[20:21], v[4:7], off
.LBB0_23:
	s_endpgm
	.section	.rodata,"a",@progbits
	.p2align	6, 0x0
	.amdhsa_kernel bluestein_single_fwd_len1210_dim1_dp_op_CI_CI
		.amdhsa_group_segment_fixed_size 19360
		.amdhsa_private_segment_fixed_size 0
		.amdhsa_kernarg_size 104
		.amdhsa_user_sgpr_count 2
		.amdhsa_user_sgpr_dispatch_ptr 0
		.amdhsa_user_sgpr_queue_ptr 0
		.amdhsa_user_sgpr_kernarg_segment_ptr 1
		.amdhsa_user_sgpr_dispatch_id 0
		.amdhsa_user_sgpr_kernarg_preload_length 0
		.amdhsa_user_sgpr_kernarg_preload_offset 0
		.amdhsa_user_sgpr_private_segment_size 0
		.amdhsa_uses_dynamic_stack 0
		.amdhsa_enable_private_segment 0
		.amdhsa_system_sgpr_workgroup_id_x 1
		.amdhsa_system_sgpr_workgroup_id_y 0
		.amdhsa_system_sgpr_workgroup_id_z 0
		.amdhsa_system_sgpr_workgroup_info 0
		.amdhsa_system_vgpr_workitem_id 0
		.amdhsa_next_free_vgpr 252
		.amdhsa_next_free_sgpr 44
		.amdhsa_accum_offset 252
		.amdhsa_reserve_vcc 1
		.amdhsa_float_round_mode_32 0
		.amdhsa_float_round_mode_16_64 0
		.amdhsa_float_denorm_mode_32 3
		.amdhsa_float_denorm_mode_16_64 3
		.amdhsa_dx10_clamp 1
		.amdhsa_ieee_mode 1
		.amdhsa_fp16_overflow 0
		.amdhsa_tg_split 0
		.amdhsa_exception_fp_ieee_invalid_op 0
		.amdhsa_exception_fp_denorm_src 0
		.amdhsa_exception_fp_ieee_div_zero 0
		.amdhsa_exception_fp_ieee_overflow 0
		.amdhsa_exception_fp_ieee_underflow 0
		.amdhsa_exception_fp_ieee_inexact 0
		.amdhsa_exception_int_div_zero 0
	.end_amdhsa_kernel
	.text
.Lfunc_end0:
	.size	bluestein_single_fwd_len1210_dim1_dp_op_CI_CI, .Lfunc_end0-bluestein_single_fwd_len1210_dim1_dp_op_CI_CI
                                        ; -- End function
	.section	.AMDGPU.csdata,"",@progbits
; Kernel info:
; codeLenInByte = 19216
; NumSgprs: 50
; NumVgprs: 252
; NumAgprs: 0
; TotalNumVgprs: 252
; ScratchSize: 0
; MemoryBound: 0
; FloatMode: 240
; IeeeMode: 1
; LDSByteSize: 19360 bytes/workgroup (compile time only)
; SGPRBlocks: 6
; VGPRBlocks: 31
; NumSGPRsForWavesPerEU: 50
; NumVGPRsForWavesPerEU: 252
; AccumOffset: 252
; Occupancy: 2
; WaveLimiterHint : 1
; COMPUTE_PGM_RSRC2:SCRATCH_EN: 0
; COMPUTE_PGM_RSRC2:USER_SGPR: 2
; COMPUTE_PGM_RSRC2:TRAP_HANDLER: 0
; COMPUTE_PGM_RSRC2:TGID_X_EN: 1
; COMPUTE_PGM_RSRC2:TGID_Y_EN: 0
; COMPUTE_PGM_RSRC2:TGID_Z_EN: 0
; COMPUTE_PGM_RSRC2:TIDIG_COMP_CNT: 0
; COMPUTE_PGM_RSRC3_GFX90A:ACCUM_OFFSET: 62
; COMPUTE_PGM_RSRC3_GFX90A:TG_SPLIT: 0
	.text
	.p2alignl 6, 3212836864
	.fill 256, 4, 3212836864
	.type	__hip_cuid_91d0d40b8775dd5c,@object ; @__hip_cuid_91d0d40b8775dd5c
	.section	.bss,"aw",@nobits
	.globl	__hip_cuid_91d0d40b8775dd5c
__hip_cuid_91d0d40b8775dd5c:
	.byte	0                               ; 0x0
	.size	__hip_cuid_91d0d40b8775dd5c, 1

	.ident	"AMD clang version 19.0.0git (https://github.com/RadeonOpenCompute/llvm-project roc-6.4.0 25133 c7fe45cf4b819c5991fe208aaa96edf142730f1d)"
	.section	".note.GNU-stack","",@progbits
	.addrsig
	.addrsig_sym __hip_cuid_91d0d40b8775dd5c
	.amdgpu_metadata
---
amdhsa.kernels:
  - .agpr_count:     0
    .args:
      - .actual_access:  read_only
        .address_space:  global
        .offset:         0
        .size:           8
        .value_kind:     global_buffer
      - .actual_access:  read_only
        .address_space:  global
        .offset:         8
        .size:           8
        .value_kind:     global_buffer
      - .actual_access:  read_only
        .address_space:  global
        .offset:         16
        .size:           8
        .value_kind:     global_buffer
      - .actual_access:  read_only
        .address_space:  global
        .offset:         24
        .size:           8
        .value_kind:     global_buffer
      - .actual_access:  read_only
        .address_space:  global
        .offset:         32
        .size:           8
        .value_kind:     global_buffer
      - .offset:         40
        .size:           8
        .value_kind:     by_value
      - .address_space:  global
        .offset:         48
        .size:           8
        .value_kind:     global_buffer
      - .address_space:  global
        .offset:         56
        .size:           8
        .value_kind:     global_buffer
      - .address_space:  global
        .offset:         64
        .size:           8
        .value_kind:     global_buffer
      - .address_space:  global
        .offset:         72
        .size:           8
        .value_kind:     global_buffer
      - .offset:         80
        .size:           4
        .value_kind:     by_value
      - .address_space:  global
        .offset:         88
        .size:           8
        .value_kind:     global_buffer
      - .address_space:  global
        .offset:         96
        .size:           8
        .value_kind:     global_buffer
    .group_segment_fixed_size: 19360
    .kernarg_segment_align: 8
    .kernarg_segment_size: 104
    .language:       OpenCL C
    .language_version:
      - 2
      - 0
    .max_flat_workgroup_size: 110
    .name:           bluestein_single_fwd_len1210_dim1_dp_op_CI_CI
    .private_segment_fixed_size: 0
    .sgpr_count:     50
    .sgpr_spill_count: 0
    .symbol:         bluestein_single_fwd_len1210_dim1_dp_op_CI_CI.kd
    .uniform_work_group_size: 1
    .uses_dynamic_stack: false
    .vgpr_count:     252
    .vgpr_spill_count: 0
    .wavefront_size: 64
amdhsa.target:   amdgcn-amd-amdhsa--gfx950
amdhsa.version:
  - 1
  - 2
...

	.end_amdgpu_metadata
